;; amdgpu-corpus repo=ROCm/rocFFT kind=compiled arch=gfx906 opt=O3
	.text
	.amdgcn_target "amdgcn-amd-amdhsa--gfx906"
	.amdhsa_code_object_version 6
	.protected	bluestein_single_fwd_len1875_dim1_dp_op_CI_CI ; -- Begin function bluestein_single_fwd_len1875_dim1_dp_op_CI_CI
	.globl	bluestein_single_fwd_len1875_dim1_dp_op_CI_CI
	.p2align	8
	.type	bluestein_single_fwd_len1875_dim1_dp_op_CI_CI,@function
bluestein_single_fwd_len1875_dim1_dp_op_CI_CI: ; @bluestein_single_fwd_len1875_dim1_dp_op_CI_CI
; %bb.0:
	s_load_dwordx4 s[12:15], s[4:5], 0x28
	v_mul_u32_u24_e32 v1, 0x20d, v0
	s_mov_b64 s[22:23], s[2:3]
	v_lshrrev_b32_e32 v3, 16, v1
	s_mov_b64 s[20:21], s[0:1]
	v_lshl_add_u32 v1, s6, 1, v3
	v_mov_b32_e32 v2, 0
	s_add_u32 s20, s20, s7
	s_waitcnt lgkmcnt(0)
	v_cmp_gt_u64_e32 vcc, s[12:13], v[1:2]
	s_addc_u32 s21, s21, 0
	s_and_saveexec_b64 s[0:1], vcc
	s_cbranch_execz .LBB0_2
; %bb.1:
	s_load_dwordx4 s[8:11], s[4:5], 0x0
	s_load_dwordx4 s[16:19], s[4:5], 0x18
	s_load_dwordx2 s[12:13], s[4:5], 0x38
	v_and_b32_e32 v2, 1, v3
	v_cmp_eq_u32_e32 vcc, 1, v2
	v_mov_b32_e32 v2, 0x7530
	s_waitcnt lgkmcnt(0)
	s_load_dwordx4 s[0:3], s[18:19], 0x0
	v_cndmask_b32_e32 v59, 0, v2, vcc
                                        ; kill: killed $sgpr8_sgpr9
	s_movk_i32 s18, 0xcd
	v_mov_b32_e32 v50, 6
	v_mov_b32_e32 v220, s11
	s_waitcnt lgkmcnt(0)
	v_mad_u64_u32 v[6:7], s[4:5], s2, v1, 0
	v_mov_b32_e32 v2, v7
	v_mad_u64_u32 v[4:5], s[2:3], s3, v1, v[2:3]
	v_mov_b32_e32 v7, v4
	buffer_store_dword v6, off, s[20:23], 0 offset:32 ; 4-byte Folded Spill
	s_nop 0
	buffer_store_dword v7, off, s[20:23], 0 offset:36 ; 4-byte Folded Spill
	s_load_dwordx4 s[4:7], s[16:17], 0x0
	s_movk_i32 s16, 0x2000
	s_movk_i32 s17, 0x7d
	s_waitcnt lgkmcnt(0)
	v_mad_u64_u32 v[4:5], s[2:3], s6, v1, 0
	s_movk_i32 s6, 0x1000
	v_mov_b32_e32 v2, v5
	v_mad_u64_u32 v[1:2], s[2:3], s7, v1, v[2:3]
	v_mov_b32_e32 v5, v1
	v_mul_lo_u16_e32 v1, 0x7d, v3
	v_sub_u16_e32 v51, v0, v1
	v_lshlrev_b32_e32 v17, 4, v51
	global_load_dwordx4 v[10:13], v17, s[8:9]
	v_mad_u64_u32 v[0:1], s[2:3], s4, v51, 0
	v_add_u32_e32 v16, v59, v17
                                        ; kill: killed $vgpr17
	v_lshlrev_b32_e32 v225, 5, v51
	v_mad_u64_u32 v[1:2], s[2:3], s5, v51, v[1:2]
	v_lshlrev_b64 v[2:3], 4, v[4:5]
	v_mov_b32_e32 v4, s15
	v_add_co_u32_e32 v2, vcc, s14, v2
	v_lshlrev_b64 v[0:1], 4, v[0:1]
	v_addc_co_u32_e32 v3, vcc, v4, v3, vcc
	v_add_co_u32_e32 v8, vcc, v2, v0
	v_addc_co_u32_e32 v9, vcc, v3, v1, vcc
	global_load_dwordx4 v[0:3], v[8:9], off
	v_add_co_u32_e32 v255, vcc, s8, v17
	v_mov_b32_e32 v4, s9
	v_addc_co_u32_e32 v232, vcc, 0, v4, vcc
	s_mul_i32 s2, s5, 0x1770
	s_mul_hi_u32 s3, s4, 0x1770
	s_add_i32 s2, s3, s2
	s_mul_i32 s3, s4, 0x1770
	v_add_co_u32_e32 v8, vcc, s3, v8
	s_mulk_i32 s5, 0xaa10
	s_sub_i32 s5, s5, s4
	s_mov_b32 s15, 0xbfee6f0e
	s_waitcnt vmcnt(1)
	buffer_store_dword v10, off, s[20:23], 0 offset:152 ; 4-byte Folded Spill
	s_nop 0
	buffer_store_dword v11, off, s[20:23], 0 offset:156 ; 4-byte Folded Spill
	buffer_store_dword v12, off, s[20:23], 0 offset:160 ; 4-byte Folded Spill
	;; [unrolled: 1-line block ×3, first 2 shown]
	s_waitcnt vmcnt(4)
	v_mul_f64 v[4:5], v[2:3], v[12:13]
	v_fma_f64 v[4:5], v[0:1], v[10:11], v[4:5]
	v_mul_f64 v[0:1], v[0:1], v[12:13]
	v_fma_f64 v[6:7], v[2:3], v[10:11], -v[0:1]
	v_mov_b32_e32 v0, s2
	v_addc_co_u32_e32 v9, vcc, v9, v0, vcc
	v_add_co_u32_e32 v10, vcc, s6, v255
	v_addc_co_u32_e32 v11, vcc, 0, v232, vcc
	global_load_dwordx4 v[12:15], v[10:11], off offset:1904
	global_load_dwordx4 v[0:3], v[8:9], off
	ds_write_b128 v16, v[4:7]
	v_add_co_u32_e32 v8, vcc, s3, v8
	s_movk_i32 s6, 0x4000
                                        ; kill: killed $vgpr10 killed $vgpr11
	s_waitcnt vmcnt(1)
	buffer_store_dword v12, off, s[20:23], 0 offset:184 ; 4-byte Folded Spill
	s_nop 0
	buffer_store_dword v13, off, s[20:23], 0 offset:188 ; 4-byte Folded Spill
	buffer_store_dword v14, off, s[20:23], 0 offset:192 ; 4-byte Folded Spill
	;; [unrolled: 1-line block ×3, first 2 shown]
	s_waitcnt vmcnt(4)
	v_mul_f64 v[4:5], v[2:3], v[14:15]
	v_fma_f64 v[4:5], v[0:1], v[12:13], v[4:5]
	v_mul_f64 v[0:1], v[0:1], v[14:15]
	v_fma_f64 v[6:7], v[2:3], v[12:13], -v[0:1]
	v_mov_b32_e32 v0, s2
	v_addc_co_u32_e32 v9, vcc, v9, v0, vcc
	v_add_co_u32_e32 v12, vcc, s16, v255
	v_addc_co_u32_e32 v13, vcc, 0, v232, vcc
	global_load_dwordx4 v[18:21], v[12:13], off offset:3808
	global_load_dwordx4 v[0:3], v[8:9], off
	ds_write_b128 v16, v[4:7] offset:6000
	v_add_co_u32_e32 v8, vcc, s3, v8
                                        ; kill: killed $vgpr12 killed $vgpr13
	s_waitcnt vmcnt(1)
	buffer_store_dword v18, off, s[20:23], 0 offset:200 ; 4-byte Folded Spill
	s_nop 0
	buffer_store_dword v19, off, s[20:23], 0 offset:204 ; 4-byte Folded Spill
	buffer_store_dword v20, off, s[20:23], 0 offset:208 ; 4-byte Folded Spill
	;; [unrolled: 1-line block ×3, first 2 shown]
	s_waitcnt vmcnt(4)
	v_mul_f64 v[4:5], v[2:3], v[20:21]
	v_fma_f64 v[4:5], v[0:1], v[18:19], v[4:5]
	v_mul_f64 v[0:1], v[0:1], v[20:21]
	v_fma_f64 v[6:7], v[2:3], v[18:19], -v[0:1]
	v_mov_b32_e32 v0, s2
	v_addc_co_u32_e32 v9, vcc, v9, v0, vcc
	v_add_co_u32_e32 v14, vcc, s6, v255
	v_addc_co_u32_e32 v15, vcc, 0, v232, vcc
	global_load_dwordx4 v[18:21], v[14:15], off offset:1616
	global_load_dwordx4 v[0:3], v[8:9], off
	ds_write_b128 v16, v[4:7] offset:12000
	v_add_co_u32_e32 v8, vcc, s3, v8
	s_movk_i32 s6, 0x5000
                                        ; kill: killed $vgpr14 killed $vgpr15
	s_waitcnt vmcnt(1)
	buffer_store_dword v18, off, s[20:23], 0 offset:216 ; 4-byte Folded Spill
	s_nop 0
	buffer_store_dword v19, off, s[20:23], 0 offset:220 ; 4-byte Folded Spill
	buffer_store_dword v20, off, s[20:23], 0 offset:224 ; 4-byte Folded Spill
	;; [unrolled: 1-line block ×3, first 2 shown]
	s_waitcnt vmcnt(4)
	v_mul_f64 v[4:5], v[2:3], v[20:21]
	v_fma_f64 v[4:5], v[0:1], v[18:19], v[4:5]
	v_mul_f64 v[0:1], v[0:1], v[20:21]
	v_fma_f64 v[6:7], v[2:3], v[18:19], -v[0:1]
	v_mov_b32_e32 v0, s2
	v_addc_co_u32_e32 v9, vcc, v9, v0, vcc
	v_add_co_u32_e32 v18, vcc, s6, v255
	v_addc_co_u32_e32 v19, vcc, 0, v232, vcc
	global_load_dwordx4 v[20:23], v[18:19], off offset:3520
	global_load_dwordx4 v[0:3], v[8:9], off
	ds_write_b128 v16, v[4:7] offset:18000
	v_add_co_u32_e32 v216, vcc, s17, v51
                                        ; kill: killed $vgpr18 killed $vgpr19
	s_waitcnt vmcnt(1)
	buffer_store_dword v20, off, s[20:23], 0 offset:232 ; 4-byte Folded Spill
	s_nop 0
	buffer_store_dword v21, off, s[20:23], 0 offset:236 ; 4-byte Folded Spill
	buffer_store_dword v22, off, s[20:23], 0 offset:240 ; 4-byte Folded Spill
	;; [unrolled: 1-line block ×3, first 2 shown]
	s_waitcnt vmcnt(4)
	v_mul_f64 v[4:5], v[2:3], v[22:23]
	v_fma_f64 v[4:5], v[0:1], v[20:21], v[4:5]
	v_mul_f64 v[0:1], v[0:1], v[22:23]
	v_fma_f64 v[6:7], v[2:3], v[20:21], -v[0:1]
	v_mov_b32_e32 v0, 0xffffaa10
	v_mad_u64_u32 v[8:9], s[6:7], s4, v0, v[8:9]
	s_movk_i32 s6, 0x3000
	v_mov_b32_e32 v20, 0xffffaa10
	v_add_u32_e32 v9, s5, v9
	ds_write_b128 v16, v[4:7] offset:24000
	global_load_dwordx4 v[0:3], v[8:9], off
	global_load_dwordx4 v[21:24], v17, s[8:9] offset:2000
	v_add_co_u32_e32 v8, vcc, s3, v8
	s_waitcnt vmcnt(0)
	buffer_store_dword v21, off, s[20:23], 0 offset:88 ; 4-byte Folded Spill
	s_nop 0
	buffer_store_dword v22, off, s[20:23], 0 offset:92 ; 4-byte Folded Spill
	buffer_store_dword v23, off, s[20:23], 0 offset:96 ; 4-byte Folded Spill
	;; [unrolled: 1-line block ×3, first 2 shown]
	v_mul_f64 v[4:5], v[2:3], v[23:24]
	v_fma_f64 v[4:5], v[0:1], v[21:22], v[4:5]
	v_mul_f64 v[0:1], v[0:1], v[23:24]
	v_fma_f64 v[6:7], v[2:3], v[21:22], -v[0:1]
	v_mov_b32_e32 v0, s2
	v_addc_co_u32_e32 v9, vcc, v9, v0, vcc
	ds_write_b128 v16, v[4:7] offset:2000
	global_load_dwordx4 v[0:3], v[8:9], off
	global_load_dwordx4 v[21:24], v[10:11], off offset:3904
	v_add_co_u32_e32 v8, vcc, s3, v8
	s_waitcnt vmcnt(0)
	buffer_store_dword v21, off, s[20:23], 0 offset:104 ; 4-byte Folded Spill
	s_nop 0
	buffer_store_dword v22, off, s[20:23], 0 offset:108 ; 4-byte Folded Spill
	buffer_store_dword v23, off, s[20:23], 0 offset:112 ; 4-byte Folded Spill
	;; [unrolled: 1-line block ×3, first 2 shown]
	v_mul_f64 v[4:5], v[2:3], v[23:24]
	v_fma_f64 v[4:5], v[0:1], v[21:22], v[4:5]
	v_mul_f64 v[0:1], v[0:1], v[23:24]
	v_fma_f64 v[6:7], v[2:3], v[21:22], -v[0:1]
	v_mov_b32_e32 v0, s2
	v_addc_co_u32_e32 v9, vcc, v9, v0, vcc
	v_add_co_u32_e32 v10, vcc, s6, v255
	v_addc_co_u32_e32 v11, vcc, 0, v232, vcc
	global_load_dwordx4 v[21:24], v[10:11], off offset:1712
	global_load_dwordx4 v[0:3], v[8:9], off
	ds_write_b128 v16, v[4:7] offset:8000
	v_add_co_u32_e32 v8, vcc, s3, v8
	s_movk_i32 s6, 0x6000
                                        ; kill: killed $vgpr10 killed $vgpr11
	s_waitcnt vmcnt(1)
	buffer_store_dword v21, off, s[20:23], 0 offset:120 ; 4-byte Folded Spill
	s_nop 0
	buffer_store_dword v22, off, s[20:23], 0 offset:124 ; 4-byte Folded Spill
	buffer_store_dword v23, off, s[20:23], 0 offset:128 ; 4-byte Folded Spill
	;; [unrolled: 1-line block ×3, first 2 shown]
	s_waitcnt vmcnt(4)
	v_mul_f64 v[4:5], v[2:3], v[23:24]
	v_fma_f64 v[4:5], v[0:1], v[21:22], v[4:5]
	v_mul_f64 v[0:1], v[0:1], v[23:24]
	v_fma_f64 v[6:7], v[2:3], v[21:22], -v[0:1]
	v_mov_b32_e32 v0, s2
	v_addc_co_u32_e32 v9, vcc, v9, v0, vcc
	ds_write_b128 v16, v[4:7] offset:14000
	global_load_dwordx4 v[0:3], v[8:9], off
	global_load_dwordx4 v[21:24], v[14:15], off offset:3616
	v_add_co_u32_e32 v8, vcc, s3, v8
	s_waitcnt vmcnt(0)
	buffer_store_dword v21, off, s[20:23], 0 offset:136 ; 4-byte Folded Spill
	s_nop 0
	buffer_store_dword v22, off, s[20:23], 0 offset:140 ; 4-byte Folded Spill
	buffer_store_dword v23, off, s[20:23], 0 offset:144 ; 4-byte Folded Spill
	;; [unrolled: 1-line block ×3, first 2 shown]
	v_mul_f64 v[4:5], v[2:3], v[23:24]
	v_fma_f64 v[4:5], v[0:1], v[21:22], v[4:5]
	v_mul_f64 v[0:1], v[0:1], v[23:24]
	v_fma_f64 v[6:7], v[2:3], v[21:22], -v[0:1]
	v_mov_b32_e32 v0, s2
	v_addc_co_u32_e32 v9, vcc, v9, v0, vcc
	v_add_co_u32_e32 v14, vcc, s6, v255
	v_addc_co_u32_e32 v15, vcc, 0, v232, vcc
	global_load_dwordx4 v[21:24], v[14:15], off offset:1424
	global_load_dwordx4 v[0:3], v[8:9], off
	ds_write_b128 v16, v[4:7] offset:20000
	s_movk_i32 s6, 0xfa
	v_add_co_u32_e32 v217, vcc, s6, v51
	v_mad_u64_u32 v[8:9], s[6:7], s4, v20, v[8:9]
                                        ; kill: killed $vgpr14 killed $vgpr15
	s_mov_b32 s7, 0xbfe2cf23
	s_waitcnt vmcnt(1)
	buffer_store_dword v21, off, s[20:23], 0 offset:168 ; 4-byte Folded Spill
	s_nop 0
	buffer_store_dword v22, off, s[20:23], 0 offset:172 ; 4-byte Folded Spill
	buffer_store_dword v23, off, s[20:23], 0 offset:176 ; 4-byte Folded Spill
	;; [unrolled: 1-line block ×3, first 2 shown]
	v_add_u32_e32 v9, s5, v9
	s_mov_b32 s4, 0x134454ff
	s_mov_b32 s5, 0x3fee6f0e
	;; [unrolled: 1-line block ×3, first 2 shown]
	s_waitcnt vmcnt(4)
	v_mul_f64 v[4:5], v[2:3], v[23:24]
	v_fma_f64 v[4:5], v[0:1], v[21:22], v[4:5]
	v_mul_f64 v[0:1], v[0:1], v[23:24]
	v_fma_f64 v[6:7], v[2:3], v[21:22], -v[0:1]
	ds_write_b128 v16, v[4:7] offset:26000
	global_load_dwordx4 v[0:3], v[8:9], off
	global_load_dwordx4 v[20:23], v17, s[8:9] offset:4000
	v_add_co_u32_e32 v8, vcc, s3, v8
	s_mov_b32 s8, 0x4755a5e
	s_mov_b32 s9, 0x3fe2cf23
	;; [unrolled: 1-line block ×3, first 2 shown]
	v_mul_lo_u16_e32 v17, 5, v51
	v_lshl_add_u32 v17, v17, 4, v59
	s_waitcnt vmcnt(0)
	buffer_store_dword v20, off, s[20:23], 0 offset:56 ; 4-byte Folded Spill
	s_nop 0
	buffer_store_dword v21, off, s[20:23], 0 offset:60 ; 4-byte Folded Spill
	buffer_store_dword v22, off, s[20:23], 0 offset:64 ; 4-byte Folded Spill
	;; [unrolled: 1-line block ×3, first 2 shown]
	v_mul_f64 v[4:5], v[2:3], v[22:23]
	v_fma_f64 v[4:5], v[0:1], v[20:21], v[4:5]
	v_mul_f64 v[0:1], v[0:1], v[22:23]
	v_fma_f64 v[6:7], v[2:3], v[20:21], -v[0:1]
	v_mov_b32_e32 v0, s2
	v_addc_co_u32_e32 v9, vcc, v9, v0, vcc
	ds_write_b128 v16, v[4:7] offset:4000
	global_load_dwordx4 v[0:3], v[8:9], off
	global_load_dwordx4 v[20:23], v[12:13], off offset:1808
	v_add_co_u32_e32 v8, vcc, s3, v8
	s_waitcnt vmcnt(0)
	buffer_store_dword v20, off, s[20:23], 0 offset:72 ; 4-byte Folded Spill
	s_nop 0
	buffer_store_dword v21, off, s[20:23], 0 offset:76 ; 4-byte Folded Spill
	buffer_store_dword v22, off, s[20:23], 0 offset:80 ; 4-byte Folded Spill
	;; [unrolled: 1-line block ×3, first 2 shown]
	v_mul_f64 v[4:5], v[2:3], v[22:23]
	v_fma_f64 v[4:5], v[0:1], v[20:21], v[4:5]
	v_mul_f64 v[0:1], v[0:1], v[22:23]
	v_fma_f64 v[6:7], v[2:3], v[20:21], -v[0:1]
	v_mov_b32_e32 v0, s2
	v_addc_co_u32_e32 v9, vcc, v9, v0, vcc
	ds_write_b128 v16, v[4:7] offset:10000
	global_load_dwordx4 v[0:3], v[8:9], off
	global_load_dwordx4 v[20:23], v[10:11], off offset:3712
	v_add_co_u32_e32 v8, vcc, s3, v8
	s_waitcnt vmcnt(0)
	buffer_store_dword v20, off, s[20:23], 0 offset:16 ; 4-byte Folded Spill
	s_nop 0
	buffer_store_dword v21, off, s[20:23], 0 offset:20 ; 4-byte Folded Spill
	buffer_store_dword v22, off, s[20:23], 0 offset:24 ; 4-byte Folded Spill
	;; [unrolled: 1-line block ×3, first 2 shown]
	v_mul_f64 v[4:5], v[2:3], v[22:23]
	v_fma_f64 v[4:5], v[0:1], v[20:21], v[4:5]
	v_mul_f64 v[0:1], v[0:1], v[22:23]
	v_fma_f64 v[6:7], v[2:3], v[20:21], -v[0:1]
	v_mov_b32_e32 v0, s2
	v_addc_co_u32_e32 v9, vcc, v9, v0, vcc
	ds_write_b128 v16, v[4:7] offset:16000
	global_load_dwordx4 v[0:3], v[8:9], off
	global_load_dwordx4 v[10:13], v[18:19], off offset:1520
	s_waitcnt vmcnt(0)
	buffer_store_dword v10, off, s[20:23], 0 ; 4-byte Folded Spill
	s_nop 0
	buffer_store_dword v11, off, s[20:23], 0 offset:4 ; 4-byte Folded Spill
	buffer_store_dword v12, off, s[20:23], 0 offset:8 ; 4-byte Folded Spill
	;; [unrolled: 1-line block ×3, first 2 shown]
	v_mul_f64 v[4:5], v[2:3], v[12:13]
	v_fma_f64 v[4:5], v[0:1], v[10:11], v[4:5]
	v_mul_f64 v[0:1], v[0:1], v[12:13]
	v_fma_f64 v[6:7], v[2:3], v[10:11], -v[0:1]
	v_mov_b32_e32 v0, s2
	ds_write_b128 v16, v[4:7] offset:22000
	v_add_co_u32_e32 v4, vcc, s3, v8
	v_addc_co_u32_e32 v5, vcc, v9, v0, vcc
	global_load_dwordx4 v[0:3], v[4:5], off
	global_load_dwordx4 v[6:9], v[14:15], off offset:3424
                                        ; kill: killed $vgpr4 killed $vgpr5
	s_mov_b32 s2, 0x372fe950
	s_mov_b32 s3, 0x3fd3c6ef
	s_waitcnt vmcnt(0)
	v_mul_f64 v[4:5], v[2:3], v[8:9]
	v_fma_f64 v[4:5], v[0:1], v[6:7], v[4:5]
	v_mul_f64 v[0:1], v[0:1], v[8:9]
	buffer_store_dword v6, off, s[20:23], 0 offset:40 ; 4-byte Folded Spill
	s_nop 0
	buffer_store_dword v7, off, s[20:23], 0 offset:44 ; 4-byte Folded Spill
	buffer_store_dword v8, off, s[20:23], 0 offset:48 ; 4-byte Folded Spill
	;; [unrolled: 1-line block ×3, first 2 shown]
	v_fma_f64 v[6:7], v[2:3], v[6:7], -v[0:1]
	ds_write_b128 v16, v[4:7] offset:28000
	s_waitcnt vmcnt(0) lgkmcnt(0)
	s_barrier
	ds_read_b128 v[12:15], v16
	ds_read_b128 v[18:21], v16 offset:6000
	ds_read_b128 v[22:25], v16 offset:12000
	;; [unrolled: 1-line block ×14, first 2 shown]
	s_waitcnt lgkmcnt(13)
	v_add_f64 v[34:35], v[12:13], v[18:19]
	s_waitcnt lgkmcnt(10)
	v_add_f64 v[36:37], v[20:21], -v[32:33]
	v_add_f64 v[40:41], v[24:25], -v[28:29]
	;; [unrolled: 1-line block ×4, first 2 shown]
	s_waitcnt lgkmcnt(2)
	v_add_f64 v[46:47], v[66:67], -v[62:63]
	s_waitcnt lgkmcnt(0)
	v_add_f64 v[48:49], v[70:71], -v[74:75]
	v_add_f64 v[34:35], v[34:35], v[22:23]
	s_barrier
	buffer_store_dword v17, off, s[20:23], 0 offset:288 ; 4-byte Folded Spill
	v_add_f64 v[42:43], v[42:43], v[44:45]
	v_add_f64 v[44:45], v[74:75], -v[70:71]
	v_add_f64 v[46:47], v[46:47], v[48:49]
	v_add_f64 v[34:35], v[34:35], v[26:27]
	;; [unrolled: 1-line block ×4, first 2 shown]
	v_fma_f64 v[34:35], v[34:35], -0.5, v[12:13]
	v_fma_f64 v[38:39], v[36:37], s[4:5], v[34:35]
	v_fma_f64 v[34:35], v[36:37], s[14:15], v[34:35]
	v_fma_f64 v[38:39], v[40:41], s[8:9], v[38:39]
	v_fma_f64 v[34:35], v[40:41], s[6:7], v[34:35]
	v_fma_f64 v[88:89], v[42:43], s[2:3], v[38:39]
	v_fma_f64 v[84:85], v[42:43], s[2:3], v[34:35]
	v_add_f64 v[34:35], v[18:19], v[30:31]
	v_add_f64 v[38:39], v[22:23], -v[18:19]
	v_add_f64 v[42:43], v[26:27], -v[30:31]
	;; [unrolled: 1-line block ×4, first 2 shown]
	v_fma_f64 v[12:13], v[34:35], -0.5, v[12:13]
	v_add_f64 v[38:39], v[38:39], v[42:43]
	v_add_f64 v[42:43], v[64:65], -v[68:69]
	v_fma_f64 v[34:35], v[40:41], s[14:15], v[12:13]
	v_fma_f64 v[12:13], v[40:41], s[4:5], v[12:13]
	;; [unrolled: 1-line block ×4, first 2 shown]
	v_add_f64 v[36:37], v[64:65], -v[60:61]
	v_fma_f64 v[96:97], v[38:39], s[2:3], v[34:35]
	v_fma_f64 v[92:93], v[38:39], s[2:3], v[12:13]
	v_add_f64 v[12:13], v[14:15], v[20:21]
	v_add_f64 v[34:35], v[32:33], -v[28:29]
	v_add_f64 v[38:39], v[68:69], -v[72:73]
	v_add_f64 v[12:13], v[12:13], v[24:25]
	v_add_f64 v[38:39], v[36:37], v[38:39]
	;; [unrolled: 1-line block ×5, first 2 shown]
	v_fma_f64 v[12:13], v[12:13], -0.5, v[14:15]
	v_fma_f64 v[30:31], v[18:19], s[14:15], v[12:13]
	v_fma_f64 v[12:13], v[18:19], s[4:5], v[12:13]
	;; [unrolled: 1-line block ×3, first 2 shown]
	v_add_f64 v[30:31], v[20:21], -v[24:25]
	v_fma_f64 v[12:13], v[22:23], s[8:9], v[12:13]
	v_add_f64 v[30:31], v[30:31], v[34:35]
	v_fma_f64 v[86:87], v[30:31], s[2:3], v[12:13]
	v_add_f64 v[12:13], v[20:21], v[32:33]
	v_add_f64 v[20:21], v[24:25], -v[20:21]
	v_add_f64 v[24:25], v[28:29], -v[32:33]
	v_fma_f64 v[90:91], v[30:31], s[2:3], v[26:27]
	v_add_f64 v[26:27], v[104:105], -v[8:9]
	v_add_f64 v[28:29], v[4:5], -v[0:1]
	;; [unrolled: 1-line block ×3, first 2 shown]
	v_fma_f64 v[12:13], v[12:13], -0.5, v[14:15]
	v_add_f64 v[20:21], v[20:21], v[24:25]
	v_add_f64 v[24:25], v[0:1], -v[4:5]
	v_add_f64 v[30:31], v[28:29], v[30:31]
	v_fma_f64 v[14:15], v[22:23], s[4:5], v[12:13]
	v_fma_f64 v[12:13], v[22:23], s[14:15], v[12:13]
	v_add_f64 v[22:23], v[6:7], -v[10:11]
	v_add_f64 v[24:25], v[24:25], v[26:27]
	v_fma_f64 v[14:15], v[18:19], s[6:7], v[14:15]
	v_fma_f64 v[12:13], v[18:19], s[8:9], v[12:13]
	v_add_f64 v[18:19], v[2:3], -v[106:107]
	v_fma_f64 v[98:99], v[20:21], s[2:3], v[14:15]
	v_add_f64 v[14:15], v[4:5], v[8:9]
	v_fma_f64 v[94:95], v[20:21], s[2:3], v[12:13]
	v_add_f64 v[12:13], v[100:101], v[0:1]
	ds_write_b128 v17, v[80:83]
	ds_write_b128 v17, v[88:91] offset:16
	ds_write_b128 v17, v[96:99] offset:32
	ds_write_b128 v17, v[92:95] offset:48
	ds_write_b128 v17, v[84:87] offset:64
	v_mul_u32_u24_e32 v17, 5, v216
	v_fma_f64 v[14:15], v[14:15], -0.5, v[100:101]
	v_lshl_add_u32 v17, v17, 4, v59
	v_add_f64 v[12:13], v[12:13], v[4:5]
	v_add_f64 v[4:5], v[4:5], -v[8:9]
	buffer_store_dword v17, off, s[20:23], 0 offset:284 ; 4-byte Folded Spill
	v_fma_f64 v[20:21], v[18:19], s[4:5], v[14:15]
	v_fma_f64 v[14:15], v[18:19], s[14:15], v[14:15]
	v_add_f64 v[12:13], v[12:13], v[8:9]
	v_fma_f64 v[20:21], v[22:23], s[8:9], v[20:21]
	v_fma_f64 v[14:15], v[22:23], s[6:7], v[14:15]
	v_add_f64 v[12:13], v[12:13], v[104:105]
	;; [unrolled: 3-line block ×3, first 2 shown]
	v_add_f64 v[0:1], v[0:1], -v[104:105]
	v_fma_f64 v[14:15], v[14:15], -0.5, v[100:101]
	v_fma_f64 v[26:27], v[22:23], s[14:15], v[14:15]
	v_fma_f64 v[14:15], v[22:23], s[4:5], v[14:15]
	;; [unrolled: 1-line block ×4, first 2 shown]
	v_add_f64 v[18:19], v[6:7], v[10:11]
	v_fma_f64 v[28:29], v[30:31], s[2:3], v[26:27]
	v_add_f64 v[26:27], v[106:107], -v[10:11]
	v_fma_f64 v[18:19], v[18:19], -0.5, v[102:103]
	v_fma_f64 v[32:33], v[30:31], s[2:3], v[14:15]
	v_add_f64 v[14:15], v[102:103], v[2:3]
	v_fma_f64 v[22:23], v[0:1], s[14:15], v[18:19]
	v_add_f64 v[14:15], v[14:15], v[6:7]
	v_fma_f64 v[8:9], v[4:5], s[6:7], v[22:23]
	v_add_f64 v[22:23], v[2:3], -v[6:7]
	v_add_f64 v[14:15], v[14:15], v[10:11]
	v_add_f64 v[26:27], v[22:23], v[26:27]
	;; [unrolled: 1-line block ×3, first 2 shown]
	v_fma_f64 v[22:23], v[26:27], s[2:3], v[8:9]
	v_fma_f64 v[8:9], v[0:1], s[4:5], v[18:19]
	;; [unrolled: 1-line block ×4, first 2 shown]
	v_add_f64 v[8:9], v[2:3], v[106:107]
	v_add_f64 v[2:3], v[6:7], -v[2:3]
	v_add_f64 v[6:7], v[10:11], -v[106:107]
	;; [unrolled: 1-line block ×3, first 2 shown]
	v_fma_f64 v[8:9], v[8:9], -0.5, v[102:103]
	v_add_f64 v[2:3], v[2:3], v[6:7]
	v_add_f64 v[6:7], v[62:63], -v[74:75]
	v_fma_f64 v[18:19], v[4:5], s[4:5], v[8:9]
	v_fma_f64 v[4:5], v[4:5], s[14:15], v[8:9]
	v_add_f64 v[8:9], v[60:61], -v[64:65]
	v_fma_f64 v[18:19], v[0:1], s[6:7], v[18:19]
	v_fma_f64 v[0:1], v[0:1], s[8:9], v[4:5]
	;; [unrolled: 1-line block ×4, first 2 shown]
	v_add_f64 v[2:3], v[64:65], v[68:69]
	v_add_f64 v[18:19], v[72:73], -v[68:69]
	v_add_f64 v[0:1], v[76:77], v[60:61]
	ds_write_b128 v17, v[12:15]
	ds_write_b128 v17, v[20:23] offset:16
	ds_write_b128 v17, v[28:31] offset:32
	;; [unrolled: 1-line block ×4, first 2 shown]
	v_mul_lo_u16_sdwa v17, v51, s18 dst_sel:DWORD dst_unused:UNUSED_PAD src0_sel:BYTE_0 src1_sel:DWORD
	v_lshrrev_b16_e32 v53, 10, v17
	v_mul_lo_u16_e32 v17, 5, v53
	v_fma_f64 v[2:3], v[2:3], -0.5, v[76:77]
	v_add_f64 v[8:9], v[8:9], v[18:19]
	v_add_f64 v[0:1], v[0:1], v[64:65]
	v_mul_u32_u24_e32 v12, 5, v217
	v_sub_u16_e32 v54, v51, v17
	v_lshlrev_b32_sdwa v17, v50, v54 dst_sel:DWORD dst_unused:UNUSED_PAD src0_sel:DWORD src1_sel:BYTE_0
	v_fma_f64 v[4:5], v[6:7], s[4:5], v[2:3]
	v_fma_f64 v[2:3], v[6:7], s[14:15], v[2:3]
	v_add_f64 v[0:1], v[0:1], v[68:69]
	v_fma_f64 v[4:5], v[10:11], s[8:9], v[4:5]
	v_fma_f64 v[2:3], v[10:11], s[6:7], v[2:3]
	v_add_f64 v[0:1], v[0:1], v[72:73]
	;; [unrolled: 3-line block ×3, first 2 shown]
	v_fma_f64 v[2:3], v[2:3], -0.5, v[76:77]
	v_fma_f64 v[18:19], v[10:11], s[14:15], v[2:3]
	v_fma_f64 v[2:3], v[10:11], s[4:5], v[2:3]
	;; [unrolled: 1-line block ×4, first 2 shown]
	v_add_f64 v[6:7], v[66:67], v[70:71]
	v_fma_f64 v[36:37], v[38:39], s[2:3], v[18:19]
	v_add_f64 v[18:19], v[60:61], -v[72:73]
	v_fma_f64 v[10:11], v[6:7], -0.5, v[78:79]
	v_fma_f64 v[40:41], v[38:39], s[2:3], v[2:3]
	v_add_f64 v[38:39], v[62:63], -v[66:67]
	v_add_f64 v[2:3], v[78:79], v[62:63]
	v_fma_f64 v[6:7], v[18:19], s[14:15], v[10:11]
	v_fma_f64 v[10:11], v[18:19], s[4:5], v[10:11]
	v_add_f64 v[38:39], v[38:39], v[44:45]
	v_add_f64 v[2:3], v[2:3], v[66:67]
	v_lshl_add_u32 v67, v12, 4, v59
	v_fma_f64 v[6:7], v[42:43], s[6:7], v[6:7]
	v_fma_f64 v[10:11], v[42:43], s[8:9], v[10:11]
	v_add_f64 v[2:3], v[2:3], v[70:71]
	v_fma_f64 v[6:7], v[38:39], s[2:3], v[6:7]
	v_fma_f64 v[10:11], v[38:39], s[2:3], v[10:11]
	v_add_f64 v[38:39], v[62:63], v[74:75]
	v_add_f64 v[2:3], v[2:3], v[74:75]
	v_fma_f64 v[44:45], v[38:39], -0.5, v[78:79]
	v_fma_f64 v[38:39], v[42:43], s[4:5], v[44:45]
	v_fma_f64 v[42:43], v[42:43], s[14:15], v[44:45]
	;; [unrolled: 1-line block ×6, first 2 shown]
	ds_write_b128 v67, v[0:3]
	ds_write_b128 v67, v[4:7] offset:16
	ds_write_b128 v67, v[36:39] offset:32
	;; [unrolled: 1-line block ×4, first 2 shown]
	s_waitcnt vmcnt(0) lgkmcnt(0)
	s_barrier
	ds_read_b128 v[118:121], v16
	ds_read_b128 v[12:15], v16 offset:6000
	ds_read_b128 v[18:21], v16 offset:12000
	;; [unrolled: 1-line block ×14, first 2 shown]
	global_load_dwordx4 v[36:39], v17, s[10:11] offset:48
	global_load_dwordx4 v[55:58], v17, s[10:11] offset:32
	;; [unrolled: 1-line block ×3, first 2 shown]
	global_load_dwordx4 v[72:75], v17, s[10:11]
	s_waitcnt vmcnt(2)
	buffer_store_dword v55, off, s[20:23], 0 offset:268 ; 4-byte Folded Spill
	s_nop 0
	buffer_store_dword v56, off, s[20:23], 0 offset:272 ; 4-byte Folded Spill
	buffer_store_dword v57, off, s[20:23], 0 offset:276 ; 4-byte Folded Spill
	;; [unrolled: 1-line block ×4, first 2 shown]
	s_nop 0
	buffer_store_dword v37, off, s[20:23], 0 offset:256 ; 4-byte Folded Spill
	buffer_store_dword v38, off, s[20:23], 0 offset:260 ; 4-byte Folded Spill
	buffer_store_dword v39, off, s[20:23], 0 offset:264 ; 4-byte Folded Spill
	s_waitcnt vmcnt(8) lgkmcnt(13)
	v_mul_f64 v[34:35], v[14:15], v[74:75]
	v_mov_b32_e32 v17, 41
	v_fma_f64 v[124:125], v[12:13], v[72:73], -v[34:35]
	v_mul_f64 v[12:13], v[12:13], v[74:75]
	v_fma_f64 v[44:45], v[14:15], v[72:73], v[12:13]
	s_waitcnt lgkmcnt(12)
	v_mul_f64 v[12:13], v[20:21], v[70:71]
	v_fma_f64 v[128:129], v[18:19], v[68:69], -v[12:13]
	v_mul_f64 v[12:13], v[18:19], v[70:71]
	v_fma_f64 v[46:47], v[20:21], v[68:69], v[12:13]
	s_waitcnt lgkmcnt(11)
	v_mul_f64 v[12:13], v[24:25], v[57:58]
	;; [unrolled: 5-line block ×3, first 2 shown]
	v_fma_f64 v[146:147], v[26:27], v[36:37], -v[12:13]
	v_mul_f64 v[12:13], v[26:27], v[38:39]
	v_fma_f64 v[136:137], v[28:29], v[36:37], v[12:13]
	v_mul_lo_u16_sdwa v12, v216, s18 dst_sel:DWORD dst_unused:UNUSED_PAD src0_sel:BYTE_0 src1_sel:DWORD
	v_lshrrev_b16_e32 v55, 10, v12
	v_mul_lo_u16_e32 v12, 5, v55
	v_sub_u16_e32 v57, v216, v12
	v_lshlrev_b32_sdwa v12, v50, v57 dst_sel:DWORD dst_unused:UNUSED_PAD src0_sel:DWORD src1_sel:BYTE_0
	global_load_dwordx4 v[76:79], v12, s[10:11] offset:48
	global_load_dwordx4 v[80:83], v12, s[10:11] offset:32
	;; [unrolled: 1-line block ×3, first 2 shown]
	global_load_dwordx4 v[88:91], v12, s[10:11]
	s_mov_b32 s18, 0xcccd
	s_waitcnt vmcnt(0) lgkmcnt(8)
	v_mul_f64 v[12:13], v[32:33], v[90:91]
	v_fma_f64 v[36:37], v[30:31], v[88:89], -v[12:13]
	v_mul_f64 v[12:13], v[30:31], v[90:91]
	v_fma_f64 v[20:21], v[32:33], v[88:89], v[12:13]
	s_waitcnt lgkmcnt(7)
	v_mul_f64 v[12:13], v[42:43], v[86:87]
	v_fma_f64 v[38:39], v[40:41], v[84:85], -v[12:13]
	v_mul_f64 v[12:13], v[40:41], v[86:87]
	v_fma_f64 v[22:23], v[42:43], v[84:85], v[12:13]
	s_waitcnt lgkmcnt(6)
	;; [unrolled: 5-line block ×3, first 2 shown]
	v_mul_f64 v[12:13], v[98:99], v[78:79]
	v_fma_f64 v[42:43], v[96:97], v[76:77], -v[12:13]
	v_mul_f64 v[12:13], v[96:97], v[78:79]
	v_fma_f64 v[26:27], v[98:99], v[76:77], v[12:13]
	v_mul_u32_u24_sdwa v12, v217, s18 dst_sel:DWORD dst_unused:UNUSED_PAD src0_sel:WORD_0 src1_sel:DWORD
	v_lshrrev_b32_e32 v140, 18, v12
	v_mul_lo_u16_e32 v12, 5, v140
	v_sub_u16_e32 v141, v217, v12
	v_lshlrev_b16_e32 v12, 2, v141
	v_lshlrev_b32_e32 v12, 4, v12
	global_load_dwordx4 v[92:95], v12, s[10:11] offset:48
	global_load_dwordx4 v[96:99], v12, s[10:11] offset:32
	;; [unrolled: 1-line block ×3, first 2 shown]
	global_load_dwordx4 v[104:107], v12, s[10:11]
	s_waitcnt vmcnt(0) lgkmcnt(0)
	s_barrier
	s_movk_i32 s18, 0x47af
	v_mul_f64 v[14:15], v[10:11], v[102:103]
	v_mul_f64 v[12:13], v[144:145], v[106:107]
	v_fma_f64 v[30:31], v[8:9], v[100:101], -v[14:15]
	v_mul_f64 v[8:9], v[8:9], v[102:103]
	v_fma_f64 v[28:29], v[142:143], v[104:105], -v[12:13]
	v_mul_f64 v[12:13], v[142:143], v[106:107]
	v_fma_f64 v[14:15], v[10:11], v[100:101], v[8:9]
	v_mul_f64 v[8:9], v[6:7], v[98:99]
	v_add_f64 v[10:11], v[146:147], -v[138:139]
	v_fma_f64 v[12:13], v[144:145], v[104:105], v[12:13]
	v_fma_f64 v[32:33], v[4:5], v[96:97], -v[8:9]
	v_mul_f64 v[4:5], v[4:5], v[98:99]
	v_add_f64 v[8:9], v[124:125], -v[128:129]
	v_fma_f64 v[48:49], v[6:7], v[96:97], v[4:5]
	v_mul_f64 v[4:5], v[2:3], v[94:95]
	v_add_f64 v[6:7], v[46:47], -v[132:133]
	v_add_f64 v[8:9], v[8:9], v[10:11]
	v_add_f64 v[10:11], v[138:139], -v[146:147]
	v_fma_f64 v[34:35], v[0:1], v[92:93], -v[4:5]
	v_mul_f64 v[0:1], v[0:1], v[94:95]
	v_fma_f64 v[18:19], v[2:3], v[92:93], v[0:1]
	v_add_f64 v[0:1], v[118:119], v[124:125]
	v_add_f64 v[2:3], v[44:45], -v[136:137]
	v_add_f64 v[0:1], v[0:1], v[128:129]
	v_add_f64 v[0:1], v[0:1], v[138:139]
	;; [unrolled: 1-line block ×4, first 2 shown]
	v_fma_f64 v[0:1], v[0:1], -0.5, v[118:119]
	v_fma_f64 v[4:5], v[2:3], s[4:5], v[0:1]
	v_fma_f64 v[0:1], v[2:3], s[14:15], v[0:1]
	;; [unrolled: 1-line block ×6, first 2 shown]
	v_add_f64 v[0:1], v[124:125], v[146:147]
	v_add_f64 v[8:9], v[128:129], -v[124:125]
	v_fma_f64 v[0:1], v[0:1], -0.5, v[118:119]
	v_add_f64 v[8:9], v[8:9], v[10:11]
	v_add_f64 v[10:11], v[136:137], -v[132:133]
	v_fma_f64 v[4:5], v[6:7], s[14:15], v[0:1]
	v_fma_f64 v[0:1], v[6:7], s[4:5], v[0:1]
	v_add_f64 v[6:7], v[128:129], -v[138:139]
	v_fma_f64 v[4:5], v[2:3], s[8:9], v[4:5]
	v_fma_f64 v[0:1], v[2:3], s[6:7], v[0:1]
	;; [unrolled: 3-line block ×3, first 2 shown]
	v_add_f64 v[0:1], v[120:121], v[44:45]
	v_add_f64 v[8:9], v[44:45], -v[46:47]
	v_add_f64 v[0:1], v[0:1], v[46:47]
	v_add_f64 v[8:9], v[8:9], v[10:11]
	v_add_f64 v[10:11], v[132:133], -v[136:137]
	v_add_f64 v[0:1], v[0:1], v[132:133]
	v_add_f64 v[118:119], v[0:1], v[136:137]
	;; [unrolled: 1-line block ×3, first 2 shown]
	v_fma_f64 v[0:1], v[0:1], -0.5, v[120:121]
	v_fma_f64 v[4:5], v[2:3], s[14:15], v[0:1]
	v_fma_f64 v[0:1], v[2:3], s[4:5], v[0:1]
	;; [unrolled: 1-line block ×6, first 2 shown]
	v_add_f64 v[0:1], v[44:45], v[136:137]
	v_add_f64 v[8:9], v[46:47], -v[44:45]
	v_add_f64 v[44:45], v[42:43], -v[40:41]
	;; [unrolled: 1-line block ×3, first 2 shown]
	v_fma_f64 v[0:1], v[0:1], -0.5, v[120:121]
	v_add_f64 v[8:9], v[8:9], v[10:11]
	v_add_f64 v[10:11], v[22:23], -v[24:25]
	v_fma_f64 v[4:5], v[6:7], s[4:5], v[0:1]
	v_fma_f64 v[0:1], v[6:7], s[14:15], v[0:1]
	v_add_f64 v[6:7], v[20:21], -v[26:27]
	v_fma_f64 v[4:5], v[2:3], s[6:7], v[4:5]
	v_fma_f64 v[0:1], v[2:3], s[8:9], v[0:1]
	v_add_f64 v[2:3], v[38:39], v[40:41]
	v_fma_f64 v[136:137], v[8:9], s[2:3], v[4:5]
	v_fma_f64 v[132:133], v[8:9], s[2:3], v[0:1]
	v_fma_f64 v[2:3], v[2:3], -0.5, v[112:113]
	v_add_f64 v[8:9], v[36:37], -v[38:39]
	v_add_f64 v[0:1], v[112:113], v[36:37]
	v_fma_f64 v[4:5], v[6:7], s[4:5], v[2:3]
	v_fma_f64 v[2:3], v[6:7], s[14:15], v[2:3]
	v_add_f64 v[44:45], v[8:9], v[44:45]
	v_add_f64 v[0:1], v[0:1], v[38:39]
	v_add_f64 v[38:39], v[38:39], -v[40:41]
	v_fma_f64 v[4:5], v[10:11], s[8:9], v[4:5]
	v_fma_f64 v[2:3], v[10:11], s[6:7], v[2:3]
	v_add_f64 v[0:1], v[0:1], v[40:41]
	v_fma_f64 v[8:9], v[44:45], s[2:3], v[4:5]
	v_fma_f64 v[4:5], v[44:45], s[2:3], v[2:3]
	v_add_f64 v[2:3], v[36:37], v[42:43]
	v_add_f64 v[36:37], v[36:37], -v[42:43]
	v_add_f64 v[0:1], v[0:1], v[42:43]
	v_fma_f64 v[2:3], v[2:3], -0.5, v[112:113]
	v_add_f64 v[112:113], v[40:41], -v[42:43]
	v_add_f64 v[40:41], v[20:21], -v[22:23]
	;; [unrolled: 1-line block ×3, first 2 shown]
	v_fma_f64 v[44:45], v[10:11], s[14:15], v[2:3]
	v_fma_f64 v[2:3], v[10:11], s[4:5], v[2:3]
	v_add_f64 v[46:47], v[46:47], v[112:113]
	v_add_f64 v[40:41], v[40:41], v[42:43]
	v_fma_f64 v[44:45], v[6:7], s[8:9], v[44:45]
	v_fma_f64 v[2:3], v[6:7], s[6:7], v[2:3]
	v_add_f64 v[6:7], v[22:23], v[24:25]
	v_fma_f64 v[44:45], v[46:47], s[2:3], v[44:45]
	v_fma_f64 v[112:113], v[46:47], s[2:3], v[2:3]
	v_fma_f64 v[6:7], v[6:7], -0.5, v[114:115]
	v_add_f64 v[2:3], v[114:115], v[20:21]
	v_fma_f64 v[10:11], v[36:37], s[14:15], v[6:7]
	v_fma_f64 v[6:7], v[36:37], s[4:5], v[6:7]
	v_add_f64 v[2:3], v[2:3], v[22:23]
	v_fma_f64 v[10:11], v[38:39], s[6:7], v[10:11]
	v_fma_f64 v[6:7], v[38:39], s[8:9], v[6:7]
	;; [unrolled: 3-line block ×3, first 2 shown]
	v_add_f64 v[40:41], v[20:21], v[26:27]
	v_add_f64 v[20:21], v[22:23], -v[20:21]
	v_add_f64 v[22:23], v[24:25], -v[26:27]
	v_add_f64 v[2:3], v[2:3], v[26:27]
	v_add_f64 v[26:27], v[12:13], -v[18:19]
	v_fma_f64 v[40:41], v[40:41], -0.5, v[114:115]
	v_add_f64 v[20:21], v[20:21], v[22:23]
	v_fma_f64 v[22:23], v[38:39], s[14:15], v[40:41]
	v_fma_f64 v[42:43], v[38:39], s[4:5], v[40:41]
	v_add_f64 v[38:39], v[14:15], -v[48:49]
	v_add_f64 v[40:41], v[34:35], -v[32:33]
	v_fma_f64 v[22:23], v[36:37], s[8:9], v[22:23]
	v_fma_f64 v[42:43], v[36:37], s[6:7], v[42:43]
	v_add_f64 v[36:37], v[28:29], -v[30:31]
	v_fma_f64 v[114:115], v[20:21], s[2:3], v[22:23]
	v_add_f64 v[22:23], v[30:31], v[32:33]
	v_add_f64 v[36:37], v[36:37], v[40:41]
	v_fma_f64 v[46:47], v[20:21], s[2:3], v[42:43]
	v_add_f64 v[20:21], v[108:109], v[28:29]
	v_add_f64 v[42:43], v[30:31], -v[28:29]
	v_fma_f64 v[22:23], v[22:23], -0.5, v[108:109]
	v_add_f64 v[20:21], v[20:21], v[30:31]
	v_add_f64 v[30:31], v[30:31], -v[32:33]
	v_fma_f64 v[24:25], v[26:27], s[4:5], v[22:23]
	v_fma_f64 v[22:23], v[26:27], s[14:15], v[22:23]
	v_add_f64 v[20:21], v[20:21], v[32:33]
	v_fma_f64 v[24:25], v[38:39], s[8:9], v[24:25]
	v_fma_f64 v[22:23], v[38:39], s[6:7], v[22:23]
	v_add_f64 v[20:21], v[20:21], v[34:35]
	;; [unrolled: 3-line block ×3, first 2 shown]
	v_add_f64 v[28:29], v[28:29], -v[34:35]
	v_fma_f64 v[22:23], v[22:23], -0.5, v[108:109]
	v_add_f64 v[108:109], v[32:33], -v[34:35]
	v_add_f64 v[32:33], v[12:13], -v[14:15]
	;; [unrolled: 1-line block ×3, first 2 shown]
	v_fma_f64 v[40:41], v[38:39], s[14:15], v[22:23]
	v_fma_f64 v[22:23], v[38:39], s[4:5], v[22:23]
	v_add_f64 v[42:43], v[42:43], v[108:109]
	v_add_f64 v[32:33], v[32:33], v[34:35]
	v_fma_f64 v[40:41], v[26:27], s[8:9], v[40:41]
	v_fma_f64 v[22:23], v[26:27], s[6:7], v[22:23]
	v_add_f64 v[26:27], v[14:15], v[48:49]
	v_fma_f64 v[40:41], v[42:43], s[2:3], v[40:41]
	v_fma_f64 v[108:109], v[42:43], s[2:3], v[22:23]
	v_fma_f64 v[38:39], v[26:27], -0.5, v[110:111]
	v_add_f64 v[22:23], v[110:111], v[12:13]
	v_fma_f64 v[26:27], v[28:29], s[14:15], v[38:39]
	v_fma_f64 v[34:35], v[28:29], s[4:5], v[38:39]
	v_add_f64 v[22:23], v[22:23], v[14:15]
	v_fma_f64 v[26:27], v[30:31], s[6:7], v[26:27]
	v_fma_f64 v[34:35], v[30:31], s[8:9], v[34:35]
	;; [unrolled: 3-line block ×3, first 2 shown]
	v_add_f64 v[32:33], v[12:13], v[18:19]
	v_add_f64 v[12:13], v[14:15], -v[12:13]
	v_add_f64 v[14:15], v[48:49], -v[18:19]
	v_add_f64 v[22:23], v[22:23], v[18:19]
	v_fma_f64 v[32:33], v[32:33], -0.5, v[110:111]
	v_add_f64 v[12:13], v[12:13], v[14:15]
	v_fma_f64 v[34:35], v[30:31], s[4:5], v[32:33]
	v_fma_f64 v[14:15], v[30:31], s[14:15], v[32:33]
	;; [unrolled: 1-line block ×6, first 2 shown]
	v_mul_u32_u24_e32 v12, 25, v53
	v_add_u32_sdwa v12, v12, v54 dst_sel:DWORD dst_unused:UNUSED_PAD src0_sel:DWORD src1_sel:BYTE_0
	v_lshl_add_u32 v12, v12, 4, v59
	buffer_store_dword v12, off, s[20:23], 0 offset:292 ; 4-byte Folded Spill
	ds_write_b128 v12, v[116:119]
	ds_write_b128 v12, v[126:129] offset:80
	ds_write_b128 v12, v[134:137] offset:160
	ds_write_b128 v12, v[130:133] offset:240
	ds_write_b128 v12, v[122:125] offset:320
	v_mul_u32_u24_e32 v12, 25, v55
	v_add_u32_sdwa v12, v12, v57 dst_sel:DWORD dst_unused:UNUSED_PAD src0_sel:DWORD src1_sel:BYTE_0
	v_lshl_add_u32 v12, v12, 4, v59
	buffer_store_dword v12, off, s[20:23], 0 offset:296 ; 4-byte Folded Spill
	ds_write_b128 v12, v[0:3]
	ds_write_b128 v12, v[8:11] offset:80
	ds_write_b128 v12, v[44:47] offset:160
	;; [unrolled: 1-line block ×4, first 2 shown]
	v_mad_legacy_u16 v0, v140, 25, v141
	v_lshl_add_u32 v58, v0, 4, v59
	ds_write_b128 v58, v[20:23]
	ds_write_b128 v58, v[24:27] offset:80
	ds_write_b128 v58, v[40:43] offset:160
	;; [unrolled: 1-line block ×4, first 2 shown]
	v_mul_lo_u16_sdwa v38, v51, v17 dst_sel:DWORD dst_unused:UNUSED_PAD src0_sel:BYTE_0 src1_sel:DWORD
	v_lshrrev_b16_e32 v57, 10, v38
	v_mul_lo_u16_e32 v38, 25, v57
	v_sub_u16_e32 v182, v51, v38
	s_waitcnt vmcnt(0) lgkmcnt(0)
	s_barrier
	ds_read_b128 v[166:169], v16
	ds_read_b128 v[12:15], v16 offset:6000
	ds_read_b128 v[18:21], v16 offset:12000
	;; [unrolled: 1-line block ×14, first 2 shown]
	buffer_store_dword v51, off, s[20:23], 0 offset:248 ; 4-byte Folded Spill
	v_lshlrev_b32_sdwa v38, v50, v182 dst_sel:DWORD dst_unused:UNUSED_PAD src0_sel:DWORD src1_sel:BYTE_0
	global_load_dwordx4 v[108:111], v38, s[10:11] offset:368
	global_load_dwordx4 v[112:115], v38, s[10:11] offset:352
	;; [unrolled: 1-line block ×4, first 2 shown]
	s_waitcnt vmcnt(0) lgkmcnt(13)
	v_mul_f64 v[38:39], v[14:15], v[130:131]
	v_fma_f64 v[52:53], v[12:13], v[128:129], -v[38:39]
	v_mul_f64 v[12:13], v[12:13], v[130:131]
	v_fma_f64 v[40:41], v[14:15], v[128:129], v[12:13]
	s_waitcnt lgkmcnt(12)
	v_mul_f64 v[12:13], v[20:21], v[118:119]
	v_fma_f64 v[176:177], v[18:19], v[116:117], -v[12:13]
	v_mul_f64 v[12:13], v[18:19], v[118:119]
	v_fma_f64 v[44:45], v[20:21], v[116:117], v[12:13]
	s_waitcnt lgkmcnt(11)
	;; [unrolled: 5-line block ×3, first 2 shown]
	v_mul_f64 v[12:13], v[28:29], v[110:111]
	v_fma_f64 v[189:190], v[26:27], v[108:109], -v[12:13]
	v_mul_f64 v[12:13], v[26:27], v[110:111]
	v_fma_f64 v[180:181], v[28:29], v[108:109], v[12:13]
	v_mul_lo_u16_sdwa v12, v216, v17 dst_sel:DWORD dst_unused:UNUSED_PAD src0_sel:BYTE_0 src1_sel:DWORD
	v_lshrrev_b16_e32 v183, 10, v12
	v_mul_lo_u16_e32 v12, 25, v183
	v_sub_u16_e32 v184, v216, v12
	v_lshlrev_b32_sdwa v12, v50, v184 dst_sel:DWORD dst_unused:UNUSED_PAD src0_sel:DWORD src1_sel:BYTE_0
	global_load_dwordx4 v[120:123], v12, s[10:11] offset:368
	global_load_dwordx4 v[124:127], v12, s[10:11] offset:352
	;; [unrolled: 1-line block ×4, first 2 shown]
	v_lshlrev_b32_e32 v17, 6, v51
	s_waitcnt vmcnt(0) lgkmcnt(8)
	v_mul_f64 v[12:13], v[32:33], v[138:139]
	v_fma_f64 v[28:29], v[30:31], v[136:137], -v[12:13]
	v_mul_f64 v[12:13], v[30:31], v[138:139]
	v_fma_f64 v[18:19], v[32:33], v[136:137], v[12:13]
	s_waitcnt lgkmcnt(7)
	v_mul_f64 v[12:13], v[36:37], v[134:135]
	v_fma_f64 v[30:31], v[34:35], v[132:133], -v[12:13]
	v_mul_f64 v[12:13], v[34:35], v[134:135]
	v_fma_f64 v[22:23], v[36:37], v[132:133], v[12:13]
	s_waitcnt lgkmcnt(6)
	;; [unrolled: 5-line block ×3, first 2 shown]
	v_mul_f64 v[12:13], v[146:147], v[122:123]
	v_fma_f64 v[34:35], v[144:145], v[120:121], -v[12:13]
	v_mul_f64 v[12:13], v[144:145], v[122:123]
	v_fma_f64 v[26:27], v[146:147], v[120:121], v[12:13]
	v_mul_u32_u24_sdwa v12, v217, s18 dst_sel:DWORD dst_unused:UNUSED_PAD src0_sel:WORD_0 src1_sel:DWORD
	v_sub_u16_sdwa v13, v217, v12 dst_sel:DWORD dst_unused:UNUSED_PAD src0_sel:DWORD src1_sel:WORD_1
	v_lshrrev_b16_e32 v13, 1, v13
	v_add_u16_sdwa v12, v13, v12 dst_sel:DWORD dst_unused:UNUSED_PAD src0_sel:DWORD src1_sel:WORD_1
	v_lshrrev_b16_e32 v185, 4, v12
	v_mul_lo_u16_e32 v12, 25, v185
	v_sub_u16_e32 v186, v217, v12
	v_lshlrev_b16_e32 v12, 6, v186
	v_add_co_u32_e32 v12, vcc, s10, v12
	v_addc_co_u32_e32 v13, vcc, 0, v220, vcc
	global_load_dwordx4 v[140:143], v[12:13], off offset:368
	global_load_dwordx4 v[144:147], v[12:13], off offset:352
	;; [unrolled: 1-line block ×4, first 2 shown]
	s_waitcnt vmcnt(0) lgkmcnt(0)
	s_barrier
	s_movk_i32 s18, 0x7530
	v_mul_f64 v[14:15], v[10:11], v[150:151]
	v_mul_f64 v[12:13], v[172:173], v[154:155]
	v_fma_f64 v[38:39], v[8:9], v[148:149], -v[14:15]
	v_mul_f64 v[8:9], v[8:9], v[150:151]
	v_fma_f64 v[36:37], v[170:171], v[152:153], -v[12:13]
	v_mul_f64 v[12:13], v[170:171], v[154:155]
	v_fma_f64 v[14:15], v[10:11], v[148:149], v[8:9]
	v_mul_f64 v[8:9], v[6:7], v[146:147]
	v_add_f64 v[10:11], v[189:190], -v[187:188]
	v_fma_f64 v[12:13], v[172:173], v[152:153], v[12:13]
	v_add_f64 v[172:173], v[180:181], -v[46:47]
	v_fma_f64 v[42:43], v[4:5], v[144:145], -v[8:9]
	v_mul_f64 v[4:5], v[4:5], v[146:147]
	v_add_f64 v[8:9], v[52:53], -v[176:177]
	v_fma_f64 v[48:49], v[6:7], v[144:145], v[4:5]
	v_mul_f64 v[4:5], v[2:3], v[142:143]
	v_add_f64 v[6:7], v[44:45], -v[46:47]
	v_add_f64 v[8:9], v[8:9], v[10:11]
	v_add_f64 v[10:11], v[187:188], -v[189:190]
	v_fma_f64 v[178:179], v[0:1], v[140:141], -v[4:5]
	v_mul_f64 v[0:1], v[0:1], v[142:143]
	v_fma_f64 v[20:21], v[2:3], v[140:141], v[0:1]
	v_add_f64 v[0:1], v[166:167], v[52:53]
	v_add_f64 v[2:3], v[40:41], -v[180:181]
	v_add_f64 v[0:1], v[0:1], v[176:177]
	v_add_f64 v[0:1], v[0:1], v[187:188]
	;; [unrolled: 1-line block ×4, first 2 shown]
	v_fma_f64 v[0:1], v[0:1], -0.5, v[166:167]
	v_fma_f64 v[4:5], v[2:3], s[4:5], v[0:1]
	v_fma_f64 v[0:1], v[2:3], s[14:15], v[0:1]
	;; [unrolled: 1-line block ×6, first 2 shown]
	v_add_f64 v[0:1], v[52:53], v[189:190]
	v_add_f64 v[8:9], v[176:177], -v[52:53]
	v_fma_f64 v[4:5], v[0:1], -0.5, v[166:167]
	v_add_f64 v[8:9], v[8:9], v[10:11]
	v_add_f64 v[10:11], v[176:177], -v[187:188]
	v_fma_f64 v[0:1], v[6:7], s[14:15], v[4:5]
	v_fma_f64 v[4:5], v[6:7], s[4:5], v[4:5]
	v_add_f64 v[6:7], v[52:53], -v[189:190]
	v_add_f64 v[52:53], v[40:41], -v[44:45]
	v_fma_f64 v[0:1], v[2:3], s[8:9], v[0:1]
	v_fma_f64 v[2:3], v[2:3], s[6:7], v[4:5]
	v_add_f64 v[52:53], v[52:53], v[172:173]
	v_fma_f64 v[0:1], v[8:9], s[2:3], v[0:1]
	v_fma_f64 v[4:5], v[8:9], s[2:3], v[2:3]
	v_add_f64 v[2:3], v[168:169], v[40:41]
	v_add_f64 v[2:3], v[2:3], v[44:45]
	;; [unrolled: 1-line block ×5, first 2 shown]
	v_fma_f64 v[2:3], v[2:3], -0.5, v[168:169]
	v_fma_f64 v[8:9], v[6:7], s[14:15], v[2:3]
	v_fma_f64 v[2:3], v[6:7], s[4:5], v[2:3]
	;; [unrolled: 1-line block ×6, first 2 shown]
	v_add_f64 v[2:3], v[40:41], v[180:181]
	v_add_f64 v[40:41], v[44:45], -v[40:41]
	v_add_f64 v[44:45], v[46:47], -v[180:181]
	;; [unrolled: 1-line block ×4, first 2 shown]
	v_fma_f64 v[8:9], v[2:3], -0.5, v[168:169]
	v_add_f64 v[168:169], v[34:35], -v[32:33]
	v_add_f64 v[40:41], v[40:41], v[44:45]
	v_fma_f64 v[2:3], v[10:11], s[4:5], v[8:9]
	v_fma_f64 v[8:9], v[10:11], s[14:15], v[8:9]
	v_add_f64 v[10:11], v[30:31], v[32:33]
	v_add_f64 v[52:53], v[52:53], v[168:169]
	v_add_f64 v[168:169], v[32:33], -v[34:35]
	v_fma_f64 v[2:3], v[6:7], s[6:7], v[2:3]
	v_fma_f64 v[6:7], v[6:7], s[8:9], v[8:9]
	v_fma_f64 v[10:11], v[10:11], -0.5, v[160:161]
	v_add_f64 v[8:9], v[160:161], v[28:29]
	v_fma_f64 v[2:3], v[40:41], s[2:3], v[2:3]
	v_fma_f64 v[6:7], v[40:41], s[2:3], v[6:7]
	v_add_f64 v[40:41], v[18:19], -v[26:27]
	v_add_f64 v[8:9], v[8:9], v[30:31]
	v_fma_f64 v[44:45], v[40:41], s[4:5], v[10:11]
	v_fma_f64 v[10:11], v[40:41], s[14:15], v[10:11]
	v_add_f64 v[8:9], v[8:9], v[32:33]
	v_fma_f64 v[44:45], v[46:47], s[8:9], v[44:45]
	v_fma_f64 v[10:11], v[46:47], s[6:7], v[10:11]
	;; [unrolled: 3-line block ×3, first 2 shown]
	v_add_f64 v[10:11], v[28:29], v[34:35]
	v_fma_f64 v[10:11], v[10:11], -0.5, v[160:161]
	v_add_f64 v[160:161], v[30:31], -v[28:29]
	v_add_f64 v[28:29], v[28:29], -v[34:35]
	;; [unrolled: 1-line block ×3, first 2 shown]
	v_fma_f64 v[52:53], v[46:47], s[14:15], v[10:11]
	v_fma_f64 v[10:11], v[46:47], s[4:5], v[10:11]
	v_add_f64 v[46:47], v[26:27], -v[24:25]
	v_add_f64 v[168:169], v[160:161], v[168:169]
	v_fma_f64 v[52:53], v[40:41], s[8:9], v[52:53]
	v_fma_f64 v[10:11], v[40:41], s[6:7], v[10:11]
	v_add_f64 v[40:41], v[22:23], v[24:25]
	v_fma_f64 v[160:161], v[168:169], s[2:3], v[52:53]
	v_fma_f64 v[191:192], v[168:169], s[2:3], v[10:11]
	v_fma_f64 v[40:41], v[40:41], -0.5, v[162:163]
	v_add_f64 v[10:11], v[162:163], v[18:19]
	v_fma_f64 v[34:35], v[28:29], s[14:15], v[40:41]
	v_add_f64 v[10:11], v[10:11], v[22:23]
	v_fma_f64 v[32:33], v[30:31], s[6:7], v[34:35]
	v_add_f64 v[34:35], v[18:19], -v[22:23]
	v_add_f64 v[10:11], v[10:11], v[24:25]
	v_add_f64 v[34:35], v[34:35], v[46:47]
	;; [unrolled: 1-line block ×3, first 2 shown]
	v_fma_f64 v[46:47], v[34:35], s[2:3], v[32:33]
	v_fma_f64 v[32:33], v[28:29], s[4:5], v[40:41]
	v_add_f64 v[40:41], v[42:43], -v[178:179]
	v_fma_f64 v[32:33], v[30:31], s[8:9], v[32:33]
	v_fma_f64 v[189:190], v[34:35], s[2:3], v[32:33]
	v_add_f64 v[32:33], v[18:19], v[26:27]
	v_add_f64 v[18:19], v[22:23], -v[18:19]
	v_add_f64 v[22:23], v[24:25], -v[26:27]
	;; [unrolled: 1-line block ×3, first 2 shown]
	v_fma_f64 v[32:33], v[32:33], -0.5, v[162:163]
	v_add_f64 v[18:19], v[18:19], v[22:23]
	v_fma_f64 v[34:35], v[30:31], s[4:5], v[32:33]
	v_fma_f64 v[22:23], v[30:31], s[14:15], v[32:33]
	v_add_f64 v[30:31], v[36:37], -v[38:39]
	v_add_f64 v[32:33], v[178:179], -v[42:43]
	v_fma_f64 v[34:35], v[28:29], s[6:7], v[34:35]
	v_fma_f64 v[22:23], v[28:29], s[8:9], v[22:23]
	v_add_f64 v[28:29], v[14:15], -v[48:49]
	v_add_f64 v[30:31], v[30:31], v[32:33]
	v_fma_f64 v[162:163], v[18:19], s[2:3], v[34:35]
	v_fma_f64 v[193:194], v[18:19], s[2:3], v[22:23]
	v_add_f64 v[18:19], v[156:157], v[36:37]
	v_add_f64 v[34:35], v[38:39], -v[36:37]
	v_add_f64 v[18:19], v[18:19], v[38:39]
	v_add_f64 v[34:35], v[34:35], v[40:41]
	v_add_f64 v[40:41], v[12:13], -v[14:15]
	v_add_f64 v[18:19], v[18:19], v[42:43]
	v_add_f64 v[22:23], v[18:19], v[178:179]
	;; [unrolled: 1-line block ×3, first 2 shown]
	v_add_f64 v[38:39], v[38:39], -v[42:43]
	v_add_f64 v[42:43], v[20:21], -v[48:49]
	v_fma_f64 v[18:19], v[18:19], -0.5, v[156:157]
	v_add_f64 v[40:41], v[40:41], v[42:43]
	v_fma_f64 v[26:27], v[24:25], s[4:5], v[18:19]
	v_fma_f64 v[18:19], v[24:25], s[14:15], v[18:19]
	;; [unrolled: 1-line block ×6, first 2 shown]
	v_add_f64 v[18:19], v[36:37], v[178:179]
	v_add_f64 v[36:37], v[36:37], -v[178:179]
	v_fma_f64 v[32:33], v[18:19], -0.5, v[156:157]
	v_fma_f64 v[18:19], v[28:29], s[14:15], v[32:33]
	v_fma_f64 v[28:29], v[28:29], s[4:5], v[32:33]
	;; [unrolled: 1-line block ×4, first 2 shown]
	v_add_f64 v[28:29], v[14:15], v[48:49]
	v_fma_f64 v[18:19], v[34:35], s[2:3], v[18:19]
	v_fma_f64 v[34:35], v[34:35], s[2:3], v[24:25]
	v_fma_f64 v[32:33], v[28:29], -0.5, v[158:159]
	v_add_f64 v[24:25], v[158:159], v[12:13]
	v_fma_f64 v[28:29], v[36:37], s[14:15], v[32:33]
	v_fma_f64 v[32:33], v[36:37], s[4:5], v[32:33]
	v_add_f64 v[24:25], v[24:25], v[14:15]
	v_fma_f64 v[28:29], v[38:39], s[6:7], v[28:29]
	v_fma_f64 v[32:33], v[38:39], s[8:9], v[32:33]
	;; [unrolled: 3-line block ×3, first 2 shown]
	v_add_f64 v[40:41], v[12:13], v[20:21]
	v_add_f64 v[12:13], v[14:15], -v[12:13]
	v_add_f64 v[14:15], v[48:49], -v[20:21]
	v_add_f64 v[24:25], v[24:25], v[20:21]
	v_fma_f64 v[40:41], v[40:41], -0.5, v[158:159]
	v_add_f64 v[12:13], v[12:13], v[14:15]
	v_fma_f64 v[42:43], v[38:39], s[4:5], v[40:41]
	v_fma_f64 v[14:15], v[38:39], s[14:15], v[40:41]
	;; [unrolled: 1-line block ×6, first 2 shown]
	v_mul_u32_u24_e32 v12, 0x7d, v57
	v_add_u32_sdwa v12, v12, v182 dst_sel:DWORD dst_unused:UNUSED_PAD src0_sel:DWORD src1_sel:BYTE_0
	v_lshl_add_u32 v12, v12, 4, v59
	buffer_store_dword v12, off, s[20:23], 0 offset:300 ; 4-byte Folded Spill
	ds_write_b128 v12, v[164:167]
	ds_write_b128 v12, v[174:177] offset:400
	ds_write_b128 v12, v[0:3] offset:800
	;; [unrolled: 1-line block ×4, first 2 shown]
	v_mul_u32_u24_e32 v0, 0x7d, v183
	v_add_u32_sdwa v0, v0, v184 dst_sel:DWORD dst_unused:UNUSED_PAD src0_sel:DWORD src1_sel:BYTE_0
	v_lshl_add_u32 v0, v0, 4, v59
	buffer_store_dword v0, off, s[20:23], 0 offset:304 ; 4-byte Folded Spill
	ds_write_b128 v0, v[8:11]
	ds_write_b128 v0, v[44:47] offset:400
	ds_write_b128 v0, v[160:163] offset:800
	;; [unrolled: 1-line block ×4, first 2 shown]
	v_mad_legacy_u16 v0, v185, s17, v186
	v_lshl_add_u32 v0, v0, 4, v59
	buffer_store_dword v0, off, s[20:23], 0 offset:308 ; 4-byte Folded Spill
	ds_write_b128 v0, v[22:25]
	ds_write_b128 v0, v[26:29] offset:400
	ds_write_b128 v0, v[18:21] offset:800
	;; [unrolled: 1-line block ×4, first 2 shown]
	s_waitcnt vmcnt(0) lgkmcnt(0)
	s_barrier
	ds_read_b128 v[0:3], v16
	ds_read_b128 v[4:7], v16 offset:6000
	ds_read_b128 v[8:11], v16 offset:12000
	;; [unrolled: 1-line block ×14, first 2 shown]
	global_load_dwordx4 v[156:159], v17, s[10:11] offset:1968
	global_load_dwordx4 v[160:163], v17, s[10:11] offset:1952
	;; [unrolled: 1-line block ×4, first 2 shown]
	s_movk_i32 s11, 0x625
	s_waitcnt vmcnt(0) lgkmcnt(13)
	v_mul_f64 v[47:48], v[6:7], v[170:171]
	v_fma_f64 v[47:48], v[4:5], v[168:169], -v[47:48]
	v_mul_f64 v[4:5], v[4:5], v[170:171]
	v_fma_f64 v[49:50], v[6:7], v[168:169], v[4:5]
	s_waitcnt lgkmcnt(12)
	v_mul_f64 v[4:5], v[10:11], v[166:167]
	s_waitcnt lgkmcnt(7)
	v_mul_f64 v[6:7], v[28:29], v[166:167]
	v_fma_f64 v[206:207], v[8:9], v[164:165], -v[4:5]
	v_mul_f64 v[4:5], v[8:9], v[166:167]
	s_waitcnt lgkmcnt(6)
	v_mul_f64 v[8:9], v[32:33], v[162:163]
	v_fma_f64 v[210:211], v[10:11], v[164:165], v[4:5]
	v_mul_f64 v[4:5], v[14:15], v[162:163]
	s_waitcnt lgkmcnt(5)
	v_mul_f64 v[10:11], v[36:37], v[158:159]
	v_fma_f64 v[214:215], v[12:13], v[160:161], -v[4:5]
	v_mul_f64 v[4:5], v[12:13], v[162:163]
	v_mul_u32_u24_sdwa v12, v217, s11 dst_sel:DWORD dst_unused:UNUSED_PAD src0_sel:WORD_0 src1_sel:DWORD
	v_sub_u16_sdwa v13, v217, v12 dst_sel:DWORD dst_unused:UNUSED_PAD src0_sel:DWORD src1_sel:WORD_1
	v_lshrrev_b16_e32 v13, 1, v13
	v_add_u16_sdwa v12, v13, v12 dst_sel:DWORD dst_unused:UNUSED_PAD src0_sel:DWORD src1_sel:WORD_1
	v_lshrrev_b16_e32 v12, 6, v12
	v_mul_lo_u16_e32 v12, 0x7d, v12
	v_sub_u16_e32 v38, v217, v12
	v_lshlrev_b16_e32 v12, 6, v38
	v_add_co_u32_e32 v12, vcc, s10, v12
	v_addc_co_u32_e32 v13, vcc, 0, v220, vcc
	global_load_dwordx4 v[172:175], v[12:13], off offset:1968
	global_load_dwordx4 v[176:179], v[12:13], off offset:1952
	;; [unrolled: 1-line block ×4, first 2 shown]
	v_fma_f64 v[218:219], v[14:15], v[160:161], v[4:5]
	v_mul_f64 v[4:5], v[20:21], v[158:159]
	v_add_co_u32_e32 v17, vcc, s10, v225
	s_movk_i32 s11, 0x26c0
	s_waitcnt vmcnt(0) lgkmcnt(0)
	s_barrier
	v_fma_f64 v[221:222], v[18:19], v[156:157], -v[4:5]
	v_mul_f64 v[4:5], v[18:19], v[158:159]
	v_fma_f64 v[223:224], v[20:21], v[156:157], v[4:5]
	v_mul_f64 v[4:5], v[24:25], v[170:171]
	v_fma_f64 v[20:21], v[22:23], v[168:169], -v[4:5]
	v_mul_f64 v[4:5], v[22:23], v[170:171]
	v_fma_f64 v[22:23], v[26:27], v[164:165], -v[6:7]
	;; [unrolled: 2-line block ×3, first 2 shown]
	v_mul_f64 v[10:11], v[34:35], v[158:159]
	v_fma_f64 v[4:5], v[24:25], v[168:169], v[4:5]
	v_fma_f64 v[24:25], v[30:31], v[160:161], -v[8:9]
	v_fma_f64 v[6:7], v[28:29], v[164:165], v[6:7]
	v_mul_f64 v[8:9], v[30:31], v[162:163]
	v_fma_f64 v[10:11], v[36:37], v[156:157], v[10:11]
	v_fma_f64 v[8:9], v[32:33], v[160:161], v[8:9]
	v_mul_f64 v[18:19], v[198:199], v[178:179]
	v_mul_f64 v[14:15], v[45:46], v[182:183]
	;; [unrolled: 1-line block ×3, first 2 shown]
	v_fma_f64 v[32:33], v[196:197], v[176:177], -v[18:19]
	v_mul_f64 v[18:19], v[196:197], v[178:179]
	v_fma_f64 v[28:29], v[39:40], v[184:185], -v[12:13]
	v_mul_f64 v[12:13], v[39:40], v[186:187]
	v_add_f64 v[39:40], v[0:1], v[47:48]
	v_fma_f64 v[30:31], v[43:44], v[180:181], -v[14:15]
	v_mul_f64 v[14:15], v[43:44], v[182:183]
	v_fma_f64 v[36:37], v[198:199], v[176:177], v[18:19]
	v_mul_f64 v[18:19], v[202:203], v[174:175]
	v_fma_f64 v[12:13], v[41:42], v[184:185], v[12:13]
	v_add_f64 v[39:40], v[39:40], v[206:207]
	v_add_f64 v[41:42], v[49:50], -v[223:224]
	v_fma_f64 v[14:15], v[45:46], v[180:181], v[14:15]
	v_add_f64 v[45:46], v[210:211], -v[218:219]
	v_add_f64 v[198:199], v[47:48], -v[206:207]
	v_fma_f64 v[34:35], v[200:201], v[172:173], -v[18:19]
	v_mul_f64 v[18:19], v[200:201], v[174:175]
	v_add_f64 v[39:40], v[39:40], v[214:215]
	v_add_f64 v[200:201], v[221:222], -v[214:215]
	v_fma_f64 v[18:19], v[202:203], v[172:173], v[18:19]
	v_add_f64 v[196:197], v[39:40], v[221:222]
	v_add_f64 v[39:40], v[206:207], v[214:215]
	;; [unrolled: 1-line block ×3, first 2 shown]
	v_fma_f64 v[39:40], v[39:40], -0.5, v[0:1]
	v_fma_f64 v[43:44], v[41:42], s[4:5], v[39:40]
	v_fma_f64 v[39:40], v[41:42], s[14:15], v[39:40]
	;; [unrolled: 1-line block ×6, first 2 shown]
	v_add_f64 v[39:40], v[47:48], v[221:222]
	v_add_f64 v[43:44], v[206:207], -v[47:48]
	v_add_f64 v[198:199], v[214:215], -v[221:222]
	v_fma_f64 v[0:1], v[39:40], -0.5, v[0:1]
	v_add_f64 v[43:44], v[43:44], v[198:199]
	v_fma_f64 v[39:40], v[45:46], s[14:15], v[0:1]
	v_fma_f64 v[0:1], v[45:46], s[4:5], v[0:1]
	v_add_f64 v[45:46], v[49:50], -v[210:211]
	v_fma_f64 v[39:40], v[41:42], s[8:9], v[39:40]
	v_fma_f64 v[0:1], v[41:42], s[6:7], v[0:1]
	;; [unrolled: 1-line block ×4, first 2 shown]
	v_add_f64 v[0:1], v[2:3], v[49:50]
	v_add_f64 v[39:40], v[47:48], -v[221:222]
	v_add_f64 v[43:44], v[206:207], -v[214:215]
	;; [unrolled: 1-line block ×3, first 2 shown]
	v_add_f64 v[0:1], v[0:1], v[210:211]
	v_add_f64 v[45:46], v[45:46], v[47:48]
	v_add_f64 v[47:48], v[26:27], -v[24:25]
	v_add_f64 v[0:1], v[0:1], v[218:219]
	v_add_f64 v[198:199], v[0:1], v[223:224]
	;; [unrolled: 1-line block ×3, first 2 shown]
	v_fma_f64 v[0:1], v[0:1], -0.5, v[2:3]
	v_fma_f64 v[41:42], v[39:40], s[14:15], v[0:1]
	v_fma_f64 v[0:1], v[39:40], s[4:5], v[0:1]
	;; [unrolled: 1-line block ×6, first 2 shown]
	v_add_f64 v[0:1], v[49:50], v[223:224]
	v_add_f64 v[41:42], v[210:211], -v[49:50]
	v_add_f64 v[45:46], v[218:219], -v[223:224]
	;; [unrolled: 1-line block ×3, first 2 shown]
	v_fma_f64 v[0:1], v[0:1], -0.5, v[2:3]
	v_add_f64 v[41:42], v[41:42], v[45:46]
	v_add_f64 v[45:46], v[6:7], -v[8:9]
	v_fma_f64 v[2:3], v[43:44], s[4:5], v[0:1]
	v_fma_f64 v[0:1], v[43:44], s[14:15], v[0:1]
	v_add_f64 v[43:44], v[20:21], -v[22:23]
	v_fma_f64 v[2:3], v[39:40], s[6:7], v[2:3]
	v_fma_f64 v[0:1], v[39:40], s[8:9], v[0:1]
	v_add_f64 v[43:44], v[43:44], v[47:48]
	v_fma_f64 v[214:215], v[41:42], s[2:3], v[2:3]
	v_add_f64 v[2:3], v[22:23], v[24:25]
	v_fma_f64 v[210:211], v[41:42], s[2:3], v[0:1]
	v_add_f64 v[41:42], v[4:5], -v[10:11]
	v_add_f64 v[0:1], v[192:193], v[20:21]
	v_fma_f64 v[2:3], v[2:3], -0.5, v[192:193]
	v_add_f64 v[0:1], v[0:1], v[22:23]
	v_add_f64 v[22:23], v[22:23], -v[24:25]
	v_fma_f64 v[39:40], v[41:42], s[4:5], v[2:3]
	v_fma_f64 v[2:3], v[41:42], s[14:15], v[2:3]
	v_add_f64 v[0:1], v[0:1], v[24:25]
	v_fma_f64 v[39:40], v[45:46], s[8:9], v[39:40]
	v_fma_f64 v[2:3], v[45:46], s[6:7], v[2:3]
	v_add_f64 v[0:1], v[0:1], v[26:27]
	;; [unrolled: 3-line block ×3, first 2 shown]
	v_add_f64 v[20:21], v[20:21], -v[26:27]
	v_fma_f64 v[2:3], v[2:3], -0.5, v[192:193]
	v_add_f64 v[192:193], v[24:25], -v[26:27]
	v_fma_f64 v[47:48], v[45:46], s[14:15], v[2:3]
	v_fma_f64 v[2:3], v[45:46], s[4:5], v[2:3]
	v_add_f64 v[49:50], v[49:50], v[192:193]
	v_fma_f64 v[47:48], v[41:42], s[8:9], v[47:48]
	v_fma_f64 v[2:3], v[41:42], s[6:7], v[2:3]
	v_add_f64 v[41:42], v[6:7], v[8:9]
	v_fma_f64 v[192:193], v[49:50], s[2:3], v[47:48]
	v_fma_f64 v[221:222], v[49:50], s[2:3], v[2:3]
	v_fma_f64 v[45:46], v[41:42], -0.5, v[194:195]
	v_add_f64 v[41:42], v[10:11], -v[8:9]
	v_add_f64 v[2:3], v[194:195], v[4:5]
	v_add_f64 v[47:48], v[32:33], -v[34:35]
	v_addc_co_u32_e32 v49, vcc, 0, v220, vcc
	v_fma_f64 v[26:27], v[20:21], s[14:15], v[45:46]
	v_add_f64 v[2:3], v[2:3], v[6:7]
	v_fma_f64 v[24:25], v[22:23], s[6:7], v[26:27]
	v_add_f64 v[26:27], v[4:5], -v[6:7]
	v_add_f64 v[2:3], v[2:3], v[8:9]
	v_add_f64 v[26:27], v[26:27], v[41:42]
	;; [unrolled: 1-line block ×3, first 2 shown]
	v_fma_f64 v[41:42], v[26:27], s[2:3], v[24:25]
	v_fma_f64 v[24:25], v[20:21], s[4:5], v[45:46]
	;; [unrolled: 1-line block ×4, first 2 shown]
	v_add_f64 v[24:25], v[4:5], v[10:11]
	v_add_f64 v[4:5], v[6:7], -v[4:5]
	v_add_f64 v[6:7], v[8:9], -v[10:11]
	v_add_f64 v[10:11], v[12:13], -v[18:19]
	v_fma_f64 v[24:25], v[24:25], -0.5, v[194:195]
	v_add_f64 v[4:5], v[4:5], v[6:7]
	v_fma_f64 v[6:7], v[22:23], s[14:15], v[24:25]
	v_fma_f64 v[26:27], v[22:23], s[4:5], v[24:25]
	v_add_f64 v[22:23], v[14:15], -v[36:37]
	v_add_f64 v[24:25], v[34:35], -v[32:33]
	v_fma_f64 v[6:7], v[20:21], s[8:9], v[6:7]
	v_fma_f64 v[26:27], v[20:21], s[6:7], v[26:27]
	v_add_f64 v[20:21], v[28:29], -v[30:31]
	v_fma_f64 v[223:224], v[4:5], s[2:3], v[6:7]
	v_add_f64 v[6:7], v[30:31], v[32:33]
	v_add_f64 v[20:21], v[20:21], v[24:25]
	v_fma_f64 v[194:195], v[4:5], s[2:3], v[26:27]
	v_add_f64 v[4:5], v[188:189], v[28:29]
	v_add_f64 v[26:27], v[30:31], -v[28:29]
	ds_write_b128 v16, v[196:199]
	ds_write_b128 v16, v[204:207] offset:2000
	ds_write_b128 v16, v[212:215] offset:4000
	;; [unrolled: 1-line block ×9, first 2 shown]
	v_add_co_u32_e32 v46, vcc, s11, v17
	v_fma_f64 v[6:7], v[6:7], -0.5, v[188:189]
	v_lshl_add_u32 v0, v38, 4, v59
	buffer_store_dword v0, off, s[20:23], 0 offset:312 ; 4-byte Folded Spill
	v_add_f64 v[4:5], v[4:5], v[30:31]
	v_add_f64 v[26:27], v[26:27], v[47:48]
	v_add_f64 v[30:31], v[30:31], -v[32:33]
	v_addc_co_u32_e32 v47, vcc, 0, v49, vcc
	v_fma_f64 v[8:9], v[10:11], s[4:5], v[6:7]
	v_fma_f64 v[6:7], v[10:11], s[14:15], v[6:7]
	v_add_co_u32_e32 v48, vcc, s16, v17
	v_add_f64 v[4:5], v[4:5], v[32:33]
	v_add_f64 v[32:33], v[18:19], -v[36:37]
	v_addc_co_u32_e32 v49, vcc, 0, v49, vcc
	v_fma_f64 v[8:9], v[22:23], s[8:9], v[8:9]
	v_fma_f64 v[6:7], v[22:23], s[6:7], v[6:7]
	v_lshlrev_b32_e32 v17, 5, v216
	v_add_co_u32_e32 v17, vcc, s10, v17
	v_add_f64 v[4:5], v[4:5], v[34:35]
	v_fma_f64 v[8:9], v[20:21], s[2:3], v[8:9]
	v_fma_f64 v[20:21], v[20:21], s[2:3], v[6:7]
	v_add_f64 v[6:7], v[28:29], v[34:35]
	v_add_f64 v[28:29], v[28:29], -v[34:35]
	v_fma_f64 v[6:7], v[6:7], -0.5, v[188:189]
	v_fma_f64 v[24:25], v[22:23], s[14:15], v[6:7]
	v_fma_f64 v[6:7], v[22:23], s[4:5], v[6:7]
	;; [unrolled: 1-line block ×4, first 2 shown]
	v_add_f64 v[10:11], v[14:15], v[36:37]
	v_fma_f64 v[24:25], v[26:27], s[2:3], v[24:25]
	v_fma_f64 v[188:189], v[26:27], s[2:3], v[6:7]
	v_fma_f64 v[22:23], v[10:11], -0.5, v[190:191]
	v_add_f64 v[26:27], v[12:13], -v[14:15]
	v_add_f64 v[6:7], v[190:191], v[12:13]
	v_fma_f64 v[10:11], v[28:29], s[14:15], v[22:23]
	v_fma_f64 v[22:23], v[28:29], s[4:5], v[22:23]
	v_add_f64 v[26:27], v[26:27], v[32:33]
	v_add_f64 v[6:7], v[6:7], v[14:15]
	v_fma_f64 v[10:11], v[30:31], s[6:7], v[10:11]
	v_fma_f64 v[22:23], v[30:31], s[8:9], v[22:23]
	v_add_f64 v[6:7], v[6:7], v[36:37]
	v_fma_f64 v[10:11], v[26:27], s[2:3], v[10:11]
	v_fma_f64 v[22:23], v[26:27], s[2:3], v[22:23]
	v_add_f64 v[26:27], v[12:13], v[18:19]
	v_add_f64 v[12:13], v[14:15], -v[12:13]
	v_add_f64 v[14:15], v[36:37], -v[18:19]
	v_add_f64 v[6:7], v[6:7], v[18:19]
	v_fma_f64 v[32:33], v[26:27], -0.5, v[190:191]
	v_add_f64 v[12:13], v[12:13], v[14:15]
	v_fma_f64 v[26:27], v[30:31], s[4:5], v[32:33]
	v_fma_f64 v[14:15], v[30:31], s[14:15], v[32:33]
	;; [unrolled: 1-line block ×6, first 2 shown]
	ds_write_b128 v0, v[4:7] offset:20000
	ds_write_b128 v0, v[8:11] offset:22000
	;; [unrolled: 1-line block ×5, first 2 shown]
	s_waitcnt vmcnt(0) lgkmcnt(0)
	s_barrier
	ds_read_b128 v[12:15], v16
	ds_read_b128 v[18:21], v16 offset:10000
	ds_read_b128 v[22:25], v16 offset:20000
	;; [unrolled: 1-line block ×14, first 2 shown]
	global_load_dwordx4 v[192:195], v[48:49], off offset:1728
	global_load_dwordx4 v[188:191], v[46:47], off offset:16
	s_waitcnt vmcnt(1) lgkmcnt(13)
	v_mul_f64 v[46:47], v[20:21], v[194:195]
	v_fma_f64 v[48:49], v[18:19], v[192:193], -v[46:47]
	v_mul_f64 v[18:19], v[18:19], v[194:195]
	v_fma_f64 v[52:53], v[20:21], v[192:193], v[18:19]
	s_waitcnt vmcnt(0) lgkmcnt(12)
	v_mul_f64 v[18:19], v[24:25], v[190:191]
	v_addc_co_u32_e32 v21, vcc, 0, v220, vcc
	v_fma_f64 v[241:242], v[22:23], v[188:189], -v[18:19]
	v_mul_f64 v[18:19], v[22:23], v[190:191]
	v_fma_f64 v[59:60], v[24:25], v[188:189], v[18:19]
	v_add_co_u32_e32 v18, vcc, s11, v17
	v_addc_co_u32_e32 v19, vcc, 0, v21, vcc
	v_add_co_u32_e32 v20, vcc, s16, v17
	v_addc_co_u32_e32 v21, vcc, 0, v21, vcc
	global_load_dwordx4 v[200:203], v[20:21], off offset:1728
	global_load_dwordx4 v[196:199], v[18:19], off offset:16
	v_lshlrev_b32_e32 v17, 5, v217
	v_add_co_u32_e32 v17, vcc, s10, v17
	v_addc_co_u32_e32 v21, vcc, 0, v220, vcc
	s_waitcnt vmcnt(1) lgkmcnt(10)
	v_mul_f64 v[18:19], v[28:29], v[202:203]
	v_fma_f64 v[243:244], v[26:27], v[200:201], -v[18:19]
	v_mul_f64 v[18:19], v[26:27], v[202:203]
	v_fma_f64 v[245:246], v[28:29], v[200:201], v[18:19]
	s_waitcnt vmcnt(0) lgkmcnt(9)
	v_mul_f64 v[18:19], v[32:33], v[198:199]
	v_add_f64 v[27:28], v[52:53], -v[59:60]
	v_fma_f64 v[247:248], v[30:31], v[196:197], -v[18:19]
	v_mul_f64 v[18:19], v[30:31], v[198:199]
	v_fma_f64 v[32:33], v[32:33], v[196:197], v[18:19]
	v_add_co_u32_e32 v18, vcc, s11, v17
	v_addc_co_u32_e32 v19, vcc, 0, v21, vcc
	v_add_co_u32_e32 v20, vcc, s16, v17
	v_addc_co_u32_e32 v21, vcc, 0, v21, vcc
	global_load_dwordx4 v[208:211], v[20:21], off offset:1728
	global_load_dwordx4 v[204:207], v[18:19], off offset:16
	v_add_u32_e32 v17, 0x2ee0, v225
	v_add_co_u32_e32 v17, vcc, s10, v17
	v_addc_co_u32_e32 v21, vcc, 0, v220, vcc
	v_add_f64 v[30:31], v[245:246], -v[32:33]
	s_waitcnt vmcnt(1) lgkmcnt(7)
	v_mul_f64 v[18:19], v[36:37], v[210:211]
	v_fma_f64 v[249:250], v[34:35], v[208:209], -v[18:19]
	v_mul_f64 v[18:19], v[34:35], v[210:211]
	v_add_f64 v[34:35], v[243:244], -v[247:248]
	v_fma_f64 v[251:252], v[36:37], v[208:209], v[18:19]
	s_waitcnt vmcnt(0) lgkmcnt(6)
	v_mul_f64 v[18:19], v[40:41], v[206:207]
	v_fma_f64 v[253:254], v[38:39], v[204:205], -v[18:19]
	v_mul_f64 v[18:19], v[38:39], v[206:207]
	v_add_f64 v[36:37], v[249:250], v[253:254]
	v_fma_f64 v[40:41], v[40:41], v[204:205], v[18:19]
	v_add_co_u32_e32 v18, vcc, s11, v17
	v_addc_co_u32_e32 v19, vcc, 0, v21, vcc
	v_add_co_u32_e32 v20, vcc, s16, v17
	v_addc_co_u32_e32 v21, vcc, 0, v21, vcc
	global_load_dwordx4 v[216:219], v[20:21], off offset:1728
	global_load_dwordx4 v[212:215], v[18:19], off offset:16
	v_fma_f64 v[36:37], v[36:37], -0.5, v[4:5]
	v_add_f64 v[38:39], v[251:252], -v[40:41]
	s_waitcnt vmcnt(1) lgkmcnt(4)
	v_mul_f64 v[18:19], v[44:45], v[218:219]
	s_waitcnt vmcnt(0) lgkmcnt(3)
	v_mul_f64 v[21:22], v[221:222], v[214:215]
	v_fma_f64 v[50:51], v[42:43], v[216:217], -v[18:19]
	v_mul_f64 v[18:19], v[42:43], v[218:219]
	v_add_f64 v[42:43], v[249:250], -v[253:254]
	v_fma_f64 v[23:24], v[44:45], v[216:217], v[18:19]
	v_mul_f64 v[19:20], v[223:224], v[214:215]
	v_fma_f64 v[17:18], v[223:224], v[212:213], v[21:22]
	v_add_u32_e32 v21, 0x3e80, v225
	v_add_co_u32_e32 v25, vcc, s10, v21
	v_addc_co_u32_e32 v26, vcc, 0, v220, vcc
	v_add_co_u32_e32 v21, vcc, s11, v25
	v_addc_co_u32_e32 v22, vcc, 0, v26, vcc
	;; [unrolled: 2-line block ×3, first 2 shown]
	v_fma_f64 v[19:20], v[221:222], v[212:213], -v[19:20]
	global_load_dwordx4 v[224:227], v[25:26], off offset:1728
	global_load_dwordx4 v[220:223], v[21:22], off offset:16
	s_mov_b32 s16, 0xe8584caa
	s_mov_b32 s17, 0x3febb67a
	;; [unrolled: 1-line block ×4, first 2 shown]
	v_add_f64 v[44:45], v[50:51], v[19:20]
	v_fma_f64 v[44:45], v[44:45], -0.5, v[0:1]
	s_waitcnt vmcnt(1) lgkmcnt(1)
	v_mul_f64 v[25:26], v[233:234], v[226:227]
	v_mul_f64 v[21:22], v[235:236], v[226:227]
	v_fma_f64 v[61:62], v[235:236], v[224:225], v[25:26]
	s_waitcnt vmcnt(0) lgkmcnt(0)
	v_mul_f64 v[25:26], v[239:240], v[222:223]
	v_fma_f64 v[54:55], v[233:234], v[224:225], -v[21:22]
	v_fma_f64 v[21:22], v[237:238], v[220:221], -v[25:26]
	v_mul_f64 v[25:26], v[237:238], v[222:223]
	v_fma_f64 v[56:57], v[239:240], v[220:221], v[25:26]
	v_add_f64 v[25:26], v[12:13], v[48:49]
	v_add_f64 v[63:64], v[25:26], v[241:242]
	;; [unrolled: 1-line block ×3, first 2 shown]
	v_fma_f64 v[25:26], v[25:26], -0.5, v[12:13]
	v_fma_f64 v[12:13], v[27:28], s[16:17], v[25:26]
	v_fma_f64 v[46:47], v[27:28], s[10:11], v[25:26]
	v_add_f64 v[25:26], v[14:15], v[52:53]
	v_add_f64 v[27:28], v[48:49], -v[241:242]
	v_add_f64 v[65:66], v[25:26], v[59:60]
	v_add_f64 v[25:26], v[52:53], v[59:60]
	v_add_f64 v[52:53], v[23:24], -v[17:18]
	v_fma_f64 v[25:26], v[25:26], -0.5, v[14:15]
	v_fma_f64 v[233:234], v[52:53], s[10:11], v[44:45]
	v_fma_f64 v[14:15], v[27:28], s[10:11], v[25:26]
	;; [unrolled: 1-line block ×3, first 2 shown]
	v_add_f64 v[28:29], v[243:244], v[247:248]
	v_add_f64 v[25:26], v[8:9], v[243:244]
	v_fma_f64 v[28:29], v[28:29], -0.5, v[8:9]
	v_add_f64 v[26:27], v[25:26], v[247:248]
	v_fma_f64 v[8:9], v[30:31], s[16:17], v[28:29]
	v_fma_f64 v[30:31], v[30:31], s[10:11], v[28:29]
	v_add_f64 v[28:29], v[10:11], v[245:246]
	v_add_f64 v[28:29], v[28:29], v[32:33]
	;; [unrolled: 1-line block ×3, first 2 shown]
	v_fma_f64 v[32:33], v[32:33], -0.5, v[10:11]
	v_fma_f64 v[10:11], v[34:35], s[10:11], v[32:33]
	v_fma_f64 v[32:33], v[34:35], s[16:17], v[32:33]
	v_add_f64 v[34:35], v[4:5], v[249:250]
	v_fma_f64 v[4:5], v[38:39], s[16:17], v[36:37]
	v_fma_f64 v[38:39], v[38:39], s[10:11], v[36:37]
	v_add_f64 v[36:37], v[6:7], v[251:252]
	v_add_f64 v[34:35], v[34:35], v[253:254]
	;; [unrolled: 1-line block ×4, first 2 shown]
	v_fma_f64 v[40:41], v[40:41], -0.5, v[6:7]
	v_fma_f64 v[6:7], v[42:43], s[10:11], v[40:41]
	v_fma_f64 v[40:41], v[42:43], s[16:17], v[40:41]
	v_add_f64 v[42:43], v[0:1], v[50:51]
	v_fma_f64 v[0:1], v[52:53], s[16:17], v[44:45]
	v_add_f64 v[44:45], v[2:3], v[23:24]
	v_add_f64 v[42:43], v[42:43], v[19:20]
	v_add_f64 v[19:20], v[50:51], -v[19:20]
	v_add_f64 v[44:45], v[44:45], v[17:18]
	v_add_f64 v[17:18], v[23:24], v[17:18]
	v_fma_f64 v[17:18], v[17:18], -0.5, v[2:3]
	v_fma_f64 v[2:3], v[19:20], s[10:11], v[17:18]
	v_fma_f64 v[235:236], v[19:20], s[16:17], v[17:18]
	v_add_f64 v[17:18], v[228:229], v[54:55]
	v_add_f64 v[19:20], v[61:62], -v[56:57]
	v_add_f64 v[237:238], v[17:18], v[21:22]
	v_add_f64 v[17:18], v[54:55], v[21:22]
	v_fma_f64 v[17:18], v[17:18], -0.5, v[228:229]
	v_fma_f64 v[228:229], v[19:20], s[16:17], v[17:18]
	v_fma_f64 v[241:242], v[19:20], s[10:11], v[17:18]
	;; [unrolled: 7-line block ×3, first 2 shown]
	ds_write_b128 v16, v[63:66]
	ds_write_b128 v16, v[12:15] offset:10000
	ds_write_b128 v16, v[46:49] offset:20000
	;; [unrolled: 1-line block ×14, first 2 shown]
	v_add_co_u32_e32 v12, vcc, s18, v255
	v_addc_co_u32_e32 v13, vcc, 0, v232, vcc
	s_movk_i32 s18, 0x7000
	v_add_co_u32_e32 v4, vcc, s18, v255
	v_addc_co_u32_e32 v5, vcc, 0, v232, vcc
	s_waitcnt lgkmcnt(0)
	s_barrier
	global_load_dwordx4 v[4:7], v[4:5], off offset:1328
	ds_read_b128 v[0:3], v16
	s_mov_b32 s18, 0x8000
	s_waitcnt vmcnt(0) lgkmcnt(0)
	v_mul_f64 v[8:9], v[2:3], v[6:7]
	v_fma_f64 v[8:9], v[0:1], v[4:5], -v[8:9]
	v_mul_f64 v[0:1], v[0:1], v[6:7]
	v_fma_f64 v[10:11], v[2:3], v[4:5], v[0:1]
	v_add_co_u32_e32 v4, vcc, s18, v255
	v_addc_co_u32_e32 v5, vcc, 0, v232, vcc
	global_load_dwordx4 v[4:7], v[4:5], off offset:3232
	ds_read_b128 v[0:3], v16 offset:6000
	s_mov_b32 s18, 0xa000
	ds_write_b128 v16, v[8:11]
	v_add_co_u32_e32 v14, vcc, s18, v255
	v_addc_co_u32_e32 v15, vcc, 0, v232, vcc
	s_mov_b32 s18, 0xb000
	v_add_co_u32_e32 v17, vcc, s18, v255
	v_addc_co_u32_e32 v18, vcc, 0, v232, vcc
	s_mov_b32 s18, 0xd000
	;; [unrolled: 3-line block ×4, first 2 shown]
	s_waitcnt vmcnt(0) lgkmcnt(1)
	v_mul_f64 v[8:9], v[2:3], v[6:7]
	v_fma_f64 v[8:9], v[0:1], v[4:5], -v[8:9]
	v_mul_f64 v[0:1], v[0:1], v[6:7]
	v_fma_f64 v[10:11], v[2:3], v[4:5], v[0:1]
	global_load_dwordx4 v[4:7], v[14:15], off offset:1040
	ds_read_b128 v[0:3], v16 offset:12000
	ds_write_b128 v16, v[8:11] offset:6000
	s_waitcnt vmcnt(0) lgkmcnt(1)
	v_mul_f64 v[8:9], v[2:3], v[6:7]
	v_fma_f64 v[8:9], v[0:1], v[4:5], -v[8:9]
	v_mul_f64 v[0:1], v[0:1], v[6:7]
	v_fma_f64 v[10:11], v[2:3], v[4:5], v[0:1]
	global_load_dwordx4 v[4:7], v[17:18], off offset:2944
	ds_read_b128 v[0:3], v16 offset:18000
	ds_write_b128 v16, v[8:11] offset:12000
	s_waitcnt vmcnt(0) lgkmcnt(1)
	v_mul_f64 v[8:9], v[2:3], v[6:7]
	v_fma_f64 v[8:9], v[0:1], v[4:5], -v[8:9]
	v_mul_f64 v[0:1], v[0:1], v[6:7]
	v_fma_f64 v[10:11], v[2:3], v[4:5], v[0:1]
	global_load_dwordx4 v[4:7], v[19:20], off offset:752
	ds_read_b128 v[0:3], v16 offset:24000
	ds_write_b128 v16, v[8:11] offset:18000
	s_waitcnt vmcnt(0) lgkmcnt(1)
	v_mul_f64 v[8:9], v[2:3], v[6:7]
	v_fma_f64 v[8:9], v[0:1], v[4:5], -v[8:9]
	v_mul_f64 v[0:1], v[0:1], v[6:7]
	v_fma_f64 v[10:11], v[2:3], v[4:5], v[0:1]
	global_load_dwordx4 v[4:7], v[12:13], off offset:2000
	ds_read_b128 v[0:3], v16 offset:2000
	ds_write_b128 v16, v[8:11] offset:24000
	s_waitcnt vmcnt(0) lgkmcnt(1)
	v_mul_f64 v[8:9], v[2:3], v[6:7]
	v_fma_f64 v[8:9], v[0:1], v[4:5], -v[8:9]
	v_mul_f64 v[0:1], v[0:1], v[6:7]
	v_fma_f64 v[10:11], v[2:3], v[4:5], v[0:1]
	global_load_dwordx4 v[4:7], v[21:22], off offset:1136
	ds_read_b128 v[0:3], v16 offset:8000
	ds_write_b128 v16, v[8:11] offset:2000
	s_waitcnt vmcnt(0) lgkmcnt(1)
	v_mul_f64 v[8:9], v[2:3], v[6:7]
	v_fma_f64 v[8:9], v[0:1], v[4:5], -v[8:9]
	v_mul_f64 v[0:1], v[0:1], v[6:7]
	v_fma_f64 v[10:11], v[2:3], v[4:5], v[0:1]
	global_load_dwordx4 v[4:7], v[14:15], off offset:3040
	ds_read_b128 v[0:3], v16 offset:14000
	v_add_co_u32_e32 v14, vcc, s18, v255
	v_addc_co_u32_e32 v15, vcc, 0, v232, vcc
	s_mov_b32 s18, 0xe000
	ds_write_b128 v16, v[8:11] offset:8000
	s_waitcnt vmcnt(0) lgkmcnt(1)
	v_mul_f64 v[8:9], v[2:3], v[6:7]
	v_fma_f64 v[8:9], v[0:1], v[4:5], -v[8:9]
	v_mul_f64 v[0:1], v[0:1], v[6:7]
	v_fma_f64 v[10:11], v[2:3], v[4:5], v[0:1]
	global_load_dwordx4 v[4:7], v[14:15], off offset:848
	ds_read_b128 v[0:3], v16 offset:20000
	ds_write_b128 v16, v[8:11] offset:14000
	s_waitcnt vmcnt(0) lgkmcnt(1)
	v_mul_f64 v[8:9], v[2:3], v[6:7]
	v_fma_f64 v[8:9], v[0:1], v[4:5], -v[8:9]
	v_mul_f64 v[0:1], v[0:1], v[6:7]
	v_fma_f64 v[10:11], v[2:3], v[4:5], v[0:1]
	global_load_dwordx4 v[4:7], v[19:20], off offset:2752
	ds_read_b128 v[0:3], v16 offset:26000
	;; [unrolled: 8-line block ×6, first 2 shown]
	ds_write_b128 v16, v[8:11] offset:16000
	s_waitcnt vmcnt(0) lgkmcnt(1)
	v_mul_f64 v[8:9], v[2:3], v[6:7]
	v_fma_f64 v[8:9], v[0:1], v[4:5], -v[8:9]
	v_mul_f64 v[0:1], v[0:1], v[6:7]
	v_fma_f64 v[10:11], v[2:3], v[4:5], v[0:1]
	v_add_co_u32_e32 v4, vcc, s18, v255
	v_addc_co_u32_e32 v5, vcc, 0, v232, vcc
	global_load_dwordx4 v[4:7], v[4:5], off offset:656
	ds_read_b128 v[0:3], v16 offset:28000
	ds_write_b128 v16, v[8:11] offset:22000
	s_waitcnt vmcnt(0) lgkmcnt(1)
	v_mul_f64 v[8:9], v[2:3], v[6:7]
	v_fma_f64 v[8:9], v[0:1], v[4:5], -v[8:9]
	v_mul_f64 v[0:1], v[0:1], v[6:7]
	v_fma_f64 v[10:11], v[2:3], v[4:5], v[0:1]
	ds_write_b128 v16, v[8:11] offset:28000
	s_waitcnt lgkmcnt(0)
	s_barrier
	ds_read_b128 v[17:20], v16
	ds_read_b128 v[21:24], v16 offset:6000
	ds_read_b128 v[25:28], v16 offset:12000
	;; [unrolled: 1-line block ×14, first 2 shown]
	s_waitcnt lgkmcnt(13)
	v_add_f64 v[41:42], v[17:18], v[21:22]
	s_waitcnt lgkmcnt(10)
	v_add_f64 v[43:44], v[23:24], -v[35:36]
	v_add_f64 v[47:48], v[27:28], -v[31:32]
	;; [unrolled: 1-line block ×4, first 2 shown]
	s_waitcnt lgkmcnt(1)
	v_add_f64 v[53:54], v[240:241], -v[228:229]
	s_waitcnt lgkmcnt(0)
	v_add_f64 v[55:56], v[234:235], -v[230:231]
	v_add_f64 v[41:42], v[41:42], v[25:26]
	s_barrier
	v_add_f64 v[59:60], v[242:243], -v[238:239]
	v_add_f64 v[51:52], v[49:50], v[51:52]
	v_add_f64 v[61:62], v[230:231], -v[234:235]
	v_add_f64 v[41:42], v[41:42], v[29:30]
	v_add_f64 v[59:60], v[59:60], v[61:62]
	;; [unrolled: 1-line block ×4, first 2 shown]
	v_fma_f64 v[41:42], v[41:42], -0.5, v[17:18]
	v_fma_f64 v[45:46], v[43:44], s[14:15], v[41:42]
	v_fma_f64 v[41:42], v[43:44], s[4:5], v[41:42]
	;; [unrolled: 1-line block ×6, first 2 shown]
	v_add_f64 v[41:42], v[21:22], v[33:34]
	v_add_f64 v[45:46], v[25:26], -v[21:22]
	v_add_f64 v[51:52], v[29:30], -v[33:34]
	v_add_f64 v[21:22], v[21:22], -v[33:34]
	v_add_f64 v[25:26], v[25:26], -v[29:30]
	v_fma_f64 v[17:18], v[41:42], -0.5, v[17:18]
	v_add_f64 v[45:46], v[45:46], v[51:52]
	v_fma_f64 v[41:42], v[47:48], s[4:5], v[17:18]
	v_fma_f64 v[17:18], v[47:48], s[14:15], v[17:18]
	;; [unrolled: 1-line block ×4, first 2 shown]
	v_add_f64 v[43:44], v[35:36], -v[31:32]
	v_fma_f64 v[41:42], v[45:46], s[2:3], v[41:42]
	v_fma_f64 v[45:46], v[45:46], s[2:3], v[17:18]
	v_add_f64 v[17:18], v[19:20], v[23:24]
	v_add_f64 v[17:18], v[17:18], v[27:28]
	;; [unrolled: 1-line block ×5, first 2 shown]
	v_fma_f64 v[17:18], v[17:18], -0.5, v[19:20]
	v_fma_f64 v[33:34], v[21:22], s[4:5], v[17:18]
	v_fma_f64 v[17:18], v[21:22], s[14:15], v[17:18]
	v_fma_f64 v[29:30], v[25:26], s[8:9], v[33:34]
	v_add_f64 v[33:34], v[23:24], -v[27:28]
	v_fma_f64 v[17:18], v[25:26], s[6:7], v[17:18]
	v_add_f64 v[33:34], v[33:34], v[43:44]
	v_fma_f64 v[250:251], v[33:34], s[2:3], v[17:18]
	v_add_f64 v[17:18], v[23:24], v[35:36]
	v_add_f64 v[23:24], v[27:28], -v[23:24]
	v_add_f64 v[27:28], v[31:32], -v[35:36]
	v_fma_f64 v[51:52], v[33:34], s[2:3], v[29:30]
	v_add_f64 v[31:32], v[12:13], -v[8:9]
	v_fma_f64 v[17:18], v[17:18], -0.5, v[19:20]
	v_add_f64 v[23:24], v[23:24], v[27:28]
	v_add_f64 v[27:28], v[8:9], -v[12:13]
	v_fma_f64 v[19:20], v[25:26], s[14:15], v[17:18]
	v_fma_f64 v[17:18], v[25:26], s[4:5], v[17:18]
	v_add_f64 v[25:26], v[4:5], -v[0:1]
	v_fma_f64 v[19:20], v[21:22], s[8:9], v[19:20]
	v_fma_f64 v[17:18], v[21:22], s[6:7], v[17:18]
	v_add_f64 v[27:28], v[25:26], v[27:28]
	v_fma_f64 v[43:44], v[23:24], s[2:3], v[19:20]
	v_fma_f64 v[47:48], v[23:24], s[2:3], v[17:18]
	v_add_f64 v[17:18], v[37:38], v[4:5]
	v_add_f64 v[19:20], v[6:7], -v[10:11]
	v_add_f64 v[23:24], v[2:3], -v[14:15]
	v_add_f64 v[17:18], v[17:18], v[0:1]
	v_add_f64 v[17:18], v[17:18], v[12:13]
	v_add_f64 v[29:30], v[17:18], v[8:9]
	v_add_f64 v[17:18], v[0:1], v[12:13]
	v_fma_f64 v[17:18], v[17:18], -0.5, v[37:38]
	v_fma_f64 v[21:22], v[19:20], s[14:15], v[17:18]
	v_fma_f64 v[17:18], v[19:20], s[4:5], v[17:18]
	;; [unrolled: 1-line block ×6, first 2 shown]
	v_add_f64 v[17:18], v[4:5], v[8:9]
	v_add_f64 v[27:28], v[0:1], -v[4:5]
	v_add_f64 v[4:5], v[4:5], -v[8:9]
	;; [unrolled: 1-line block ×4, first 2 shown]
	v_fma_f64 v[21:22], v[17:18], -0.5, v[37:38]
	v_add_f64 v[27:28], v[27:28], v[31:32]
	v_add_f64 v[37:38], v[228:229], -v[232:233]
	v_fma_f64 v[17:18], v[23:24], s[4:5], v[21:22]
	v_fma_f64 v[21:22], v[23:24], s[14:15], v[21:22]
	v_add_f64 v[23:24], v[10:11], -v[14:15]
	v_fma_f64 v[17:18], v[19:20], s[6:7], v[17:18]
	v_fma_f64 v[19:20], v[19:20], s[8:9], v[21:22]
	v_add_f64 v[12:13], v[12:13], v[23:24]
	v_fma_f64 v[17:18], v[27:28], s[2:3], v[17:18]
	v_fma_f64 v[21:22], v[27:28], s[2:3], v[19:20]
	v_add_f64 v[19:20], v[39:40], v[6:7]
	v_add_f64 v[19:20], v[19:20], v[2:3]
	;; [unrolled: 1-line block ×5, first 2 shown]
	v_add_f64 v[2:3], v[2:3], -v[6:7]
	v_fma_f64 v[19:20], v[19:20], -0.5, v[39:40]
	v_fma_f64 v[8:9], v[4:5], s[4:5], v[19:20]
	v_fma_f64 v[8:9], v[0:1], s[8:9], v[8:9]
	;; [unrolled: 1-line block ×6, first 2 shown]
	v_add_f64 v[8:9], v[6:7], v[10:11]
	v_add_f64 v[6:7], v[14:15], -v[10:11]
	v_add_f64 v[10:11], v[242:243], -v[230:231]
	;; [unrolled: 1-line block ×3, first 2 shown]
	v_fma_f64 v[8:9], v[8:9], -0.5, v[39:40]
	v_add_f64 v[2:3], v[2:3], v[6:7]
	v_add_f64 v[6:7], v[238:239], -v[234:235]
	v_add_f64 v[14:15], v[14:15], v[37:38]
	v_add_f64 v[39:40], v[236:237], -v[232:233]
	v_fma_f64 v[12:13], v[0:1], s[14:15], v[8:9]
	v_fma_f64 v[0:1], v[0:1], s[4:5], v[8:9]
	v_add_f64 v[8:9], v[236:237], -v[240:241]
	v_fma_f64 v[12:13], v[4:5], s[8:9], v[12:13]
	v_fma_f64 v[0:1], v[4:5], s[6:7], v[0:1]
	;; [unrolled: 1-line block ×4, first 2 shown]
	v_add_f64 v[2:3], v[240:241], v[228:229]
	v_add_f64 v[12:13], v[232:233], -v[228:229]
	v_add_f64 v[0:1], v[244:245], v[236:237]
	v_fma_f64 v[2:3], v[2:3], -0.5, v[244:245]
	v_add_f64 v[8:9], v[8:9], v[12:13]
	v_add_f64 v[0:1], v[0:1], v[240:241]
	v_fma_f64 v[4:5], v[6:7], s[14:15], v[2:3]
	v_fma_f64 v[2:3], v[6:7], s[4:5], v[2:3]
	v_add_f64 v[0:1], v[0:1], v[228:229]
	v_fma_f64 v[4:5], v[10:11], s[6:7], v[4:5]
	v_fma_f64 v[2:3], v[10:11], s[8:9], v[2:3]
	;; [unrolled: 3-line block ×3, first 2 shown]
	v_add_f64 v[2:3], v[236:237], v[232:233]
	v_fma_f64 v[2:3], v[2:3], -0.5, v[244:245]
	v_fma_f64 v[12:13], v[10:11], s[4:5], v[2:3]
	v_fma_f64 v[2:3], v[10:11], s[14:15], v[2:3]
	;; [unrolled: 1-line block ×4, first 2 shown]
	v_add_f64 v[6:7], v[242:243], v[230:231]
	v_fma_f64 v[12:13], v[14:15], s[2:3], v[12:13]
	v_fma_f64 v[37:38], v[14:15], s[2:3], v[2:3]
	v_fma_f64 v[10:11], v[6:7], -0.5, v[246:247]
	v_add_f64 v[14:15], v[238:239], -v[242:243]
	v_add_f64 v[2:3], v[246:247], v[238:239]
	v_fma_f64 v[6:7], v[39:40], s[4:5], v[10:11]
	v_fma_f64 v[10:11], v[39:40], s[14:15], v[10:11]
	v_add_f64 v[14:15], v[14:15], v[55:56]
	v_add_f64 v[2:3], v[2:3], v[242:243]
	v_fma_f64 v[6:7], v[53:54], s[8:9], v[6:7]
	v_fma_f64 v[10:11], v[53:54], s[6:7], v[10:11]
	v_add_f64 v[2:3], v[2:3], v[230:231]
	v_fma_f64 v[6:7], v[14:15], s[2:3], v[6:7]
	v_fma_f64 v[10:11], v[14:15], s[2:3], v[10:11]
	v_add_f64 v[14:15], v[238:239], v[234:235]
	v_add_f64 v[2:3], v[2:3], v[234:235]
	v_fma_f64 v[55:56], v[14:15], -0.5, v[246:247]
	v_fma_f64 v[14:15], v[53:54], s[14:15], v[55:56]
	v_fma_f64 v[53:54], v[53:54], s[4:5], v[55:56]
	;; [unrolled: 1-line block ×4, first 2 shown]
	buffer_load_dword v53, off, s[20:23], 0 offset:288 ; 4-byte Folded Reload
	s_waitcnt vmcnt(0)
	ds_write_b128 v53, v[252:255]
	ds_write_b128 v53, v[49:52] offset:16
	ds_write_b128 v53, v[41:44] offset:32
	;; [unrolled: 1-line block ×4, first 2 shown]
	buffer_load_dword v41, off, s[20:23], 0 offset:284 ; 4-byte Folded Reload
	v_fma_f64 v[14:15], v[59:60], s[2:3], v[14:15]
	v_fma_f64 v[39:40], v[59:60], s[2:3], v[39:40]
	s_waitcnt vmcnt(0)
	ds_write_b128 v41, v[29:32]
	ds_write_b128 v41, v[25:28] offset:16
	ds_write_b128 v41, v[17:20] offset:32
	;; [unrolled: 1-line block ×4, first 2 shown]
	ds_write_b128 v67, v[0:3]
	ds_write_b128 v67, v[4:7] offset:16
	ds_write_b128 v67, v[12:15] offset:32
	;; [unrolled: 1-line block ×4, first 2 shown]
	s_waitcnt lgkmcnt(0)
	s_barrier
	ds_read_b128 v[22:25], v16
	ds_read_b128 v[4:7], v16 offset:6000
	ds_read_b128 v[8:11], v16 offset:12000
	;; [unrolled: 1-line block ×14, first 2 shown]
	s_waitcnt lgkmcnt(13)
	v_mul_f64 v[50:51], v[74:75], v[6:7]
	v_fma_f64 v[50:51], v[72:73], v[4:5], v[50:51]
	v_mul_f64 v[4:5], v[74:75], v[4:5]
	v_fma_f64 v[52:53], v[72:73], v[6:7], -v[4:5]
	s_waitcnt lgkmcnt(12)
	v_mul_f64 v[4:5], v[70:71], v[10:11]
	v_fma_f64 v[54:55], v[68:69], v[8:9], v[4:5]
	v_mul_f64 v[4:5], v[70:71], v[8:9]
	buffer_load_dword v6, off, s[20:23], 0 offset:268 ; 4-byte Folded Reload
	buffer_load_dword v7, off, s[20:23], 0 offset:272 ; 4-byte Folded Reload
	;; [unrolled: 1-line block ×4, first 2 shown]
	v_fma_f64 v[56:57], v[68:69], v[10:11], -v[4:5]
	s_waitcnt lgkmcnt(0)
	v_mul_f64 v[10:11], v[94:95], v[238:239]
	s_waitcnt vmcnt(0)
	v_mul_f64 v[4:5], v[8:9], v[14:15]
	v_fma_f64 v[66:67], v[6:7], v[12:13], v[4:5]
	v_mul_f64 v[4:5], v[8:9], v[12:13]
	v_fma_f64 v[74:75], v[6:7], v[14:15], -v[4:5]
	buffer_load_dword v6, off, s[20:23], 0 offset:252 ; 4-byte Folded Reload
	buffer_load_dword v7, off, s[20:23], 0 offset:256 ; 4-byte Folded Reload
	;; [unrolled: 1-line block ×4, first 2 shown]
	s_waitcnt vmcnt(0)
	s_barrier
	v_mul_f64 v[4:5], v[8:9], v[19:20]
	v_fma_f64 v[70:71], v[6:7], v[17:18], v[4:5]
	v_mul_f64 v[4:5], v[8:9], v[17:18]
	v_mul_f64 v[8:9], v[98:99], v[234:235]
	v_fma_f64 v[240:241], v[6:7], v[19:20], -v[4:5]
	v_mul_f64 v[4:5], v[90:91], v[28:29]
	v_mul_f64 v[6:7], v[102:103], v[48:49]
	v_fma_f64 v[20:21], v[96:97], v[232:233], v[8:9]
	v_fma_f64 v[18:19], v[92:93], v[236:237], v[10:11]
	v_mul_f64 v[10:11], v[94:95], v[236:237]
	v_mul_f64 v[8:9], v[98:99], v[232:233]
	v_fma_f64 v[242:243], v[88:89], v[26:27], v[4:5]
	v_mul_f64 v[4:5], v[90:91], v[26:27]
	v_add_f64 v[26:27], v[22:23], v[50:51]
	v_fma_f64 v[14:15], v[100:101], v[46:47], v[6:7]
	v_mul_f64 v[6:7], v[102:103], v[46:47]
	v_fma_f64 v[10:11], v[92:93], v[238:239], -v[10:11]
	v_fma_f64 v[8:9], v[96:97], v[234:235], -v[8:9]
	;; [unrolled: 1-line block ×3, first 2 shown]
	v_mul_f64 v[4:5], v[86:87], v[32:33]
	v_add_f64 v[26:27], v[26:27], v[54:55]
	v_fma_f64 v[6:7], v[100:101], v[48:49], -v[6:7]
	v_fma_f64 v[28:29], v[84:85], v[30:31], v[4:5]
	v_mul_f64 v[4:5], v[86:87], v[30:31]
	v_add_f64 v[26:27], v[26:27], v[66:67]
	v_add_f64 v[30:31], v[52:53], -v[240:241]
	v_add_f64 v[48:49], v[6:7], -v[8:9]
	v_fma_f64 v[84:85], v[84:85], v[32:33], -v[4:5]
	v_mul_f64 v[4:5], v[82:83], v[36:37]
	v_add_f64 v[60:61], v[26:27], v[70:71]
	v_add_f64 v[26:27], v[54:55], v[66:67]
	v_fma_f64 v[32:33], v[80:81], v[34:35], v[4:5]
	v_mul_f64 v[4:5], v[82:83], v[34:35]
	v_fma_f64 v[26:27], v[26:27], -0.5, v[22:23]
	v_add_f64 v[46:47], v[28:29], -v[32:33]
	v_fma_f64 v[36:37], v[80:81], v[36:37], -v[4:5]
	v_mul_f64 v[4:5], v[78:79], v[40:41]
	v_fma_f64 v[34:35], v[30:31], s[14:15], v[26:27]
	v_fma_f64 v[26:27], v[30:31], s[4:5], v[26:27]
	;; [unrolled: 1-line block ×3, first 2 shown]
	v_mul_f64 v[4:5], v[78:79], v[38:39]
	v_fma_f64 v[38:39], v[76:77], v[40:41], -v[4:5]
	v_mul_f64 v[4:5], v[106:107], v[44:45]
	v_add_f64 v[40:41], v[56:57], -v[74:75]
	v_fma_f64 v[12:13], v[104:105], v[42:43], v[4:5]
	v_mul_f64 v[4:5], v[106:107], v[42:43]
	v_add_f64 v[42:43], v[50:51], -v[54:55]
	v_fma_f64 v[26:27], v[40:41], s[8:9], v[26:27]
	v_fma_f64 v[34:35], v[40:41], s[6:7], v[34:35]
	v_fma_f64 v[4:5], v[104:105], v[44:45], -v[4:5]
	v_add_f64 v[44:45], v[70:71], -v[66:67]
	v_add_f64 v[42:43], v[42:43], v[44:45]
	v_add_f64 v[44:45], v[32:33], -v[80:81]
	v_fma_f64 v[64:65], v[42:43], s[2:3], v[26:27]
	v_add_f64 v[26:27], v[50:51], v[70:71]
	v_fma_f64 v[68:69], v[42:43], s[2:3], v[34:35]
	v_add_f64 v[34:35], v[54:55], -v[50:51]
	v_add_f64 v[42:43], v[66:67], -v[70:71]
	v_fma_f64 v[22:23], v[26:27], -0.5, v[22:23]
	v_add_f64 v[34:35], v[34:35], v[42:43]
	v_add_f64 v[42:43], v[240:241], -v[74:75]
	v_fma_f64 v[26:27], v[40:41], s[4:5], v[22:23]
	v_fma_f64 v[22:23], v[40:41], s[14:15], v[22:23]
	v_add_f64 v[40:41], v[52:53], -v[56:57]
	v_fma_f64 v[26:27], v[30:31], s[6:7], v[26:27]
	v_fma_f64 v[22:23], v[30:31], s[8:9], v[22:23]
	v_add_f64 v[40:41], v[40:41], v[42:43]
	v_add_f64 v[42:43], v[80:81], -v[32:33]
	v_fma_f64 v[76:77], v[34:35], s[2:3], v[26:27]
	v_fma_f64 v[72:73], v[34:35], s[2:3], v[22:23]
	v_add_f64 v[22:23], v[24:25], v[52:53]
	v_add_f64 v[26:27], v[50:51], -v[70:71]
	v_add_f64 v[34:35], v[54:55], -v[66:67]
	;; [unrolled: 1-line block ×4, first 2 shown]
	v_add_f64 v[22:23], v[22:23], v[56:57]
	v_add_f64 v[22:23], v[22:23], v[74:75]
	;; [unrolled: 1-line block ×4, first 2 shown]
	v_fma_f64 v[22:23], v[22:23], -0.5, v[24:25]
	v_fma_f64 v[30:31], v[26:27], s[4:5], v[22:23]
	v_fma_f64 v[22:23], v[26:27], s[14:15], v[22:23]
	;; [unrolled: 1-line block ×6, first 2 shown]
	v_add_f64 v[22:23], v[52:53], v[240:241]
	v_add_f64 v[30:31], v[56:57], -v[52:53]
	v_add_f64 v[40:41], v[74:75], -v[240:241]
	;; [unrolled: 1-line block ×3, first 2 shown]
	v_fma_f64 v[22:23], v[22:23], -0.5, v[24:25]
	v_add_f64 v[30:31], v[30:31], v[40:41]
	v_add_f64 v[40:41], v[84:85], -v[36:37]
	v_add_f64 v[52:53], v[52:53], v[54:55]
	v_fma_f64 v[24:25], v[34:35], s[14:15], v[22:23]
	v_fma_f64 v[22:23], v[34:35], s[4:5], v[22:23]
	v_add_f64 v[34:35], v[88:89], -v[38:39]
	v_fma_f64 v[24:25], v[26:27], s[8:9], v[24:25]
	v_fma_f64 v[22:23], v[26:27], s[6:7], v[22:23]
	;; [unrolled: 1-line block ×3, first 2 shown]
	v_add_f64 v[24:25], v[28:29], v[32:33]
	v_fma_f64 v[74:75], v[30:31], s[2:3], v[22:23]
	v_add_f64 v[30:31], v[242:243], -v[28:29]
	v_add_f64 v[22:23], v[0:1], v[242:243]
	v_fma_f64 v[24:25], v[24:25], -0.5, v[0:1]
	v_add_f64 v[30:31], v[30:31], v[42:43]
	v_add_f64 v[42:43], v[28:29], -v[242:243]
	v_add_f64 v[22:23], v[22:23], v[28:29]
	v_fma_f64 v[26:27], v[34:35], s[14:15], v[24:25]
	v_fma_f64 v[24:25], v[34:35], s[4:5], v[24:25]
	v_add_f64 v[42:43], v[42:43], v[44:45]
	v_add_f64 v[22:23], v[22:23], v[32:33]
	v_add_f64 v[32:33], v[88:89], -v[84:85]
	v_fma_f64 v[26:27], v[40:41], s[6:7], v[26:27]
	v_fma_f64 v[24:25], v[40:41], s[8:9], v[24:25]
	v_add_f64 v[22:23], v[22:23], v[80:81]
	v_fma_f64 v[26:27], v[30:31], s[2:3], v[26:27]
	v_fma_f64 v[30:31], v[30:31], s[2:3], v[24:25]
	v_add_f64 v[24:25], v[242:243], v[80:81]
	v_fma_f64 v[24:25], v[24:25], -0.5, v[0:1]
	v_fma_f64 v[0:1], v[40:41], s[4:5], v[24:25]
	v_fma_f64 v[24:25], v[40:41], s[14:15], v[24:25]
	v_add_f64 v[40:41], v[84:85], v[36:37]
	v_fma_f64 v[0:1], v[34:35], s[6:7], v[0:1]
	v_fma_f64 v[24:25], v[34:35], s[8:9], v[24:25]
	v_fma_f64 v[40:41], v[40:41], -0.5, v[2:3]
	v_fma_f64 v[0:1], v[42:43], s[2:3], v[0:1]
	v_fma_f64 v[34:35], v[42:43], s[2:3], v[24:25]
	v_add_f64 v[42:43], v[242:243], -v[80:81]
	v_add_f64 v[24:25], v[2:3], v[88:89]
	v_fma_f64 v[44:45], v[42:43], s[4:5], v[40:41]
	v_fma_f64 v[40:41], v[42:43], s[14:15], v[40:41]
	v_add_f64 v[24:25], v[24:25], v[84:85]
	v_fma_f64 v[28:29], v[46:47], s[8:9], v[44:45]
	v_add_f64 v[44:45], v[38:39], -v[36:37]
	v_fma_f64 v[40:41], v[46:47], s[6:7], v[40:41]
	v_add_f64 v[24:25], v[24:25], v[36:37]
	v_add_f64 v[36:37], v[36:37], -v[38:39]
	v_add_f64 v[32:33], v[32:33], v[44:45]
	v_add_f64 v[44:45], v[84:85], -v[88:89]
	v_add_f64 v[24:25], v[24:25], v[38:39]
	v_fma_f64 v[28:29], v[32:33], s[2:3], v[28:29]
	v_fma_f64 v[32:33], v[32:33], s[2:3], v[40:41]
	v_add_f64 v[40:41], v[88:89], v[38:39]
	v_add_f64 v[36:37], v[44:45], v[36:37]
	v_add_f64 v[44:45], v[4:5], -v[10:11]
	v_fma_f64 v[40:41], v[40:41], -0.5, v[2:3]
	v_fma_f64 v[2:3], v[46:47], s[14:15], v[40:41]
	v_fma_f64 v[38:39], v[46:47], s[4:5], v[40:41]
	v_add_f64 v[40:41], v[14:15], v[20:21]
	v_add_f64 v[46:47], v[12:13], -v[14:15]
	v_fma_f64 v[2:3], v[42:43], s[8:9], v[2:3]
	v_fma_f64 v[38:39], v[42:43], s[6:7], v[38:39]
	v_fma_f64 v[40:41], v[40:41], -0.5, v[228:229]
	v_add_f64 v[46:47], v[46:47], v[50:51]
	v_fma_f64 v[2:3], v[36:37], s[2:3], v[2:3]
	v_fma_f64 v[36:37], v[36:37], s[2:3], v[38:39]
	;; [unrolled: 1-line block ×4, first 2 shown]
	v_add_f64 v[38:39], v[228:229], v[12:13]
	v_fma_f64 v[42:43], v[48:49], s[6:7], v[42:43]
	v_fma_f64 v[40:41], v[48:49], s[8:9], v[40:41]
	v_add_f64 v[38:39], v[38:39], v[14:15]
	v_add_f64 v[14:15], v[14:15], -v[20:21]
	v_fma_f64 v[42:43], v[46:47], s[2:3], v[42:43]
	v_fma_f64 v[46:47], v[46:47], s[2:3], v[40:41]
	v_add_f64 v[40:41], v[12:13], v[18:19]
	v_add_f64 v[38:39], v[38:39], v[20:21]
	v_add_f64 v[12:13], v[12:13], -v[18:19]
	v_fma_f64 v[40:41], v[40:41], -0.5, v[228:229]
	v_add_f64 v[38:39], v[38:39], v[18:19]
	v_add_f64 v[19:20], v[4:5], -v[6:7]
	v_fma_f64 v[50:51], v[48:49], s[4:5], v[40:41]
	v_fma_f64 v[40:41], v[48:49], s[14:15], v[40:41]
	;; [unrolled: 1-line block ×4, first 2 shown]
	v_add_f64 v[44:45], v[6:7], v[8:9]
	v_fma_f64 v[80:81], v[52:53], s[2:3], v[50:51]
	v_fma_f64 v[84:85], v[52:53], s[2:3], v[40:41]
	v_fma_f64 v[48:49], v[44:45], -0.5, v[230:231]
	v_add_f64 v[44:45], v[10:11], -v[8:9]
	v_add_f64 v[40:41], v[230:231], v[4:5]
	v_fma_f64 v[17:18], v[12:13], s[4:5], v[48:49]
	v_add_f64 v[19:20], v[19:20], v[44:45]
	v_add_f64 v[40:41], v[40:41], v[6:7]
	v_fma_f64 v[17:18], v[14:15], s[8:9], v[17:18]
	v_add_f64 v[40:41], v[40:41], v[8:9]
	v_fma_f64 v[44:45], v[19:20], s[2:3], v[17:18]
	v_fma_f64 v[17:18], v[12:13], s[14:15], v[48:49]
	v_add_f64 v[40:41], v[40:41], v[10:11]
	v_fma_f64 v[17:18], v[14:15], s[6:7], v[17:18]
	v_fma_f64 v[48:49], v[19:20], s[2:3], v[17:18]
	v_add_f64 v[17:18], v[4:5], v[10:11]
	v_add_f64 v[4:5], v[6:7], -v[4:5]
	v_add_f64 v[6:7], v[8:9], -v[10:11]
	v_fma_f64 v[17:18], v[17:18], -0.5, v[230:231]
	v_add_f64 v[4:5], v[4:5], v[6:7]
	v_fma_f64 v[19:20], v[14:15], s[14:15], v[17:18]
	v_fma_f64 v[6:7], v[14:15], s[4:5], v[17:18]
	;; [unrolled: 1-line block ×6, first 2 shown]
	buffer_load_dword v4, off, s[20:23], 0 offset:292 ; 4-byte Folded Reload
	s_waitcnt vmcnt(0)
	ds_write_b128 v4, v[60:63]
	ds_write_b128 v4, v[68:71] offset:80
	ds_write_b128 v4, v[76:79] offset:160
	;; [unrolled: 1-line block ×4, first 2 shown]
	buffer_load_dword v4, off, s[20:23], 0 offset:296 ; 4-byte Folded Reload
	s_waitcnt vmcnt(0)
	ds_write_b128 v4, v[22:25]
	ds_write_b128 v4, v[26:29] offset:80
	ds_write_b128 v4, v[0:3] offset:160
	;; [unrolled: 1-line block ×4, first 2 shown]
	ds_write_b128 v58, v[38:41]
	ds_write_b128 v58, v[42:45] offset:80
	ds_write_b128 v58, v[80:83] offset:160
	;; [unrolled: 1-line block ×4, first 2 shown]
	s_waitcnt lgkmcnt(0)
	s_barrier
	ds_read_b128 v[0:3], v16
	ds_read_b128 v[4:7], v16 offset:6000
	ds_read_b128 v[8:11], v16 offset:12000
	;; [unrolled: 1-line block ×14, first 2 shown]
	s_waitcnt lgkmcnt(13)
	v_mul_f64 v[25:26], v[130:131], v[6:7]
	s_waitcnt lgkmcnt(0)
	s_barrier
	v_fma_f64 v[50:51], v[128:129], v[4:5], v[25:26]
	v_mul_f64 v[4:5], v[130:131], v[4:5]
	v_fma_f64 v[4:5], v[128:129], v[6:7], -v[4:5]
	v_mul_f64 v[6:7], v[118:119], v[10:11]
	v_fma_f64 v[6:7], v[116:117], v[8:9], v[6:7]
	v_mul_f64 v[8:9], v[118:119], v[8:9]
	v_fma_f64 v[8:9], v[116:117], v[10:11], -v[8:9]
	v_mul_f64 v[10:11], v[114:115], v[14:15]
	;; [unrolled: 4-line block ×3, first 2 shown]
	v_mul_f64 v[14:15], v[150:151], v[48:49]
	v_fma_f64 v[54:55], v[108:109], v[17:18], v[12:13]
	v_mul_f64 v[12:13], v[110:111], v[17:18]
	v_mul_f64 v[17:18], v[146:147], v[66:67]
	v_fma_f64 v[56:57], v[108:109], v[19:20], -v[12:13]
	v_mul_f64 v[12:13], v[138:139], v[23:24]
	v_fma_f64 v[58:59], v[136:137], v[21:22], v[12:13]
	v_mul_f64 v[12:13], v[138:139], v[21:22]
	v_fma_f64 v[28:29], v[136:137], v[23:24], -v[12:13]
	v_mul_f64 v[12:13], v[134:135], v[32:33]
	v_fma_f64 v[24:25], v[144:145], v[64:65], v[17:18]
	v_mul_f64 v[17:18], v[146:147], v[64:65]
	v_fma_f64 v[22:23], v[148:149], v[46:47], v[14:15]
	v_mul_f64 v[14:15], v[150:151], v[46:47]
	v_add_f64 v[46:47], v[50:51], -v[6:7]
	v_fma_f64 v[88:89], v[132:133], v[30:31], v[12:13]
	v_mul_f64 v[12:13], v[134:135], v[30:31]
	v_fma_f64 v[14:15], v[148:149], v[48:49], -v[14:15]
	v_add_f64 v[48:49], v[54:55], -v[10:11]
	v_fma_f64 v[30:31], v[132:133], v[32:33], -v[12:13]
	v_mul_f64 v[12:13], v[126:127], v[36:37]
	v_add_f64 v[46:47], v[46:47], v[48:49]
	v_fma_f64 v[90:91], v[124:125], v[34:35], v[12:13]
	v_mul_f64 v[12:13], v[126:127], v[34:35]
	v_fma_f64 v[32:33], v[124:125], v[36:37], -v[12:13]
	v_mul_f64 v[12:13], v[122:123], v[40:41]
	v_fma_f64 v[36:37], v[144:145], v[66:67], -v[17:18]
	v_mul_f64 v[17:18], v[142:143], v[70:71]
	v_fma_f64 v[92:93], v[120:121], v[38:39], v[12:13]
	v_mul_f64 v[12:13], v[122:123], v[38:39]
	v_add_f64 v[38:39], v[0:1], v[50:51]
	v_fma_f64 v[26:27], v[140:141], v[68:69], v[17:18]
	v_mul_f64 v[17:18], v[142:143], v[68:69]
	v_fma_f64 v[34:35], v[120:121], v[40:41], -v[12:13]
	v_add_f64 v[38:39], v[38:39], v[6:7]
	v_mul_f64 v[12:13], v[154:155], v[44:45]
	v_add_f64 v[40:41], v[4:5], -v[56:57]
	v_fma_f64 v[18:19], v[140:141], v[70:71], -v[17:18]
	v_add_f64 v[48:49], v[34:35], -v[32:33]
	v_add_f64 v[38:39], v[38:39], v[10:11]
	v_fma_f64 v[20:21], v[152:153], v[42:43], v[12:13]
	v_mul_f64 v[12:13], v[154:155], v[42:43]
	v_add_f64 v[64:65], v[38:39], v[54:55]
	v_add_f64 v[38:39], v[6:7], v[10:11]
	v_fma_f64 v[12:13], v[152:153], v[44:45], -v[12:13]
	v_add_f64 v[44:45], v[8:9], -v[52:53]
	v_fma_f64 v[38:39], v[38:39], -0.5, v[0:1]
	v_fma_f64 v[42:43], v[40:41], s[14:15], v[38:39]
	v_fma_f64 v[38:39], v[40:41], s[4:5], v[38:39]
	;; [unrolled: 1-line block ×6, first 2 shown]
	v_add_f64 v[38:39], v[50:51], v[54:55]
	v_add_f64 v[42:43], v[6:7], -v[50:51]
	v_add_f64 v[46:47], v[10:11], -v[54:55]
	;; [unrolled: 1-line block ×3, first 2 shown]
	v_fma_f64 v[0:1], v[38:39], -0.5, v[0:1]
	v_add_f64 v[42:43], v[42:43], v[46:47]
	v_add_f64 v[46:47], v[88:89], -v[90:91]
	v_fma_f64 v[38:39], v[44:45], s[4:5], v[0:1]
	v_fma_f64 v[0:1], v[44:45], s[14:15], v[0:1]
	v_add_f64 v[44:45], v[58:59], -v[92:93]
	v_fma_f64 v[38:39], v[40:41], s[6:7], v[38:39]
	v_fma_f64 v[0:1], v[40:41], s[8:9], v[0:1]
	;; [unrolled: 1-line block ×4, first 2 shown]
	v_add_f64 v[0:1], v[2:3], v[4:5]
	v_add_f64 v[38:39], v[50:51], -v[54:55]
	v_add_f64 v[42:43], v[56:57], -v[52:53]
	;; [unrolled: 1-line block ×4, first 2 shown]
	v_add_f64 v[0:1], v[0:1], v[8:9]
	v_add_f64 v[0:1], v[0:1], v[52:53]
	;; [unrolled: 1-line block ×4, first 2 shown]
	v_fma_f64 v[0:1], v[0:1], -0.5, v[2:3]
	v_fma_f64 v[40:41], v[38:39], s[4:5], v[0:1]
	v_fma_f64 v[0:1], v[38:39], s[14:15], v[0:1]
	v_fma_f64 v[10:11], v[6:7], s[8:9], v[40:41]
	v_add_f64 v[40:41], v[4:5], -v[8:9]
	v_fma_f64 v[0:1], v[6:7], s[6:7], v[0:1]
	v_add_f64 v[40:41], v[40:41], v[42:43]
	v_add_f64 v[42:43], v[90:91], -v[92:93]
	v_fma_f64 v[70:71], v[40:41], s[2:3], v[0:1]
	v_add_f64 v[0:1], v[4:5], v[56:57]
	v_add_f64 v[4:5], v[8:9], -v[4:5]
	v_add_f64 v[8:9], v[52:53], -v[56:57]
	v_fma_f64 v[74:75], v[40:41], s[2:3], v[10:11]
	v_add_f64 v[10:11], v[30:31], -v[32:33]
	v_add_f64 v[40:41], v[88:89], -v[58:59]
	;; [unrolled: 1-line block ×3, first 2 shown]
	v_fma_f64 v[0:1], v[0:1], -0.5, v[2:3]
	v_add_f64 v[4:5], v[4:5], v[8:9]
	v_add_f64 v[8:9], v[58:59], -v[88:89]
	v_add_f64 v[40:41], v[40:41], v[42:43]
	v_add_f64 v[52:53], v[52:53], v[54:55]
	v_fma_f64 v[2:3], v[6:7], s[14:15], v[0:1]
	v_fma_f64 v[0:1], v[6:7], s[4:5], v[0:1]
	v_add_f64 v[6:7], v[28:29], -v[34:35]
	v_fma_f64 v[2:3], v[38:39], s[8:9], v[2:3]
	v_fma_f64 v[0:1], v[38:39], s[6:7], v[0:1]
	v_add_f64 v[38:39], v[92:93], -v[90:91]
	v_fma_f64 v[86:87], v[4:5], s[2:3], v[2:3]
	v_add_f64 v[2:3], v[88:89], v[90:91]
	v_fma_f64 v[82:83], v[4:5], s[2:3], v[0:1]
	v_add_f64 v[38:39], v[8:9], v[38:39]
	v_add_f64 v[0:1], v[76:77], v[58:59]
	v_fma_f64 v[2:3], v[2:3], -0.5, v[76:77]
	v_add_f64 v[0:1], v[0:1], v[88:89]
	v_fma_f64 v[4:5], v[6:7], s[14:15], v[2:3]
	v_fma_f64 v[2:3], v[6:7], s[4:5], v[2:3]
	v_add_f64 v[0:1], v[0:1], v[90:91]
	v_fma_f64 v[4:5], v[10:11], s[6:7], v[4:5]
	v_fma_f64 v[2:3], v[10:11], s[8:9], v[2:3]
	;; [unrolled: 3-line block ×3, first 2 shown]
	v_add_f64 v[2:3], v[58:59], v[92:93]
	v_fma_f64 v[2:3], v[2:3], -0.5, v[76:77]
	v_fma_f64 v[38:39], v[10:11], s[4:5], v[2:3]
	v_fma_f64 v[2:3], v[10:11], s[14:15], v[2:3]
	;; [unrolled: 1-line block ×4, first 2 shown]
	v_add_f64 v[6:7], v[30:31], v[32:33]
	v_fma_f64 v[38:39], v[40:41], s[2:3], v[38:39]
	v_fma_f64 v[42:43], v[40:41], s[2:3], v[2:3]
	v_fma_f64 v[6:7], v[6:7], -0.5, v[78:79]
	v_add_f64 v[40:41], v[28:29], -v[30:31]
	v_add_f64 v[2:3], v[78:79], v[28:29]
	v_fma_f64 v[10:11], v[44:45], s[4:5], v[6:7]
	v_fma_f64 v[6:7], v[44:45], s[14:15], v[6:7]
	v_add_f64 v[40:41], v[40:41], v[48:49]
	v_add_f64 v[2:3], v[2:3], v[30:31]
	v_fma_f64 v[10:11], v[46:47], s[8:9], v[10:11]
	v_fma_f64 v[6:7], v[46:47], s[6:7], v[6:7]
	v_add_f64 v[2:3], v[2:3], v[32:33]
	v_fma_f64 v[10:11], v[40:41], s[2:3], v[10:11]
	v_fma_f64 v[6:7], v[40:41], s[2:3], v[6:7]
	v_add_f64 v[40:41], v[28:29], v[34:35]
	v_add_f64 v[28:29], v[30:31], -v[28:29]
	v_add_f64 v[30:31], v[32:33], -v[34:35]
	v_add_f64 v[2:3], v[2:3], v[34:35]
	v_add_f64 v[34:35], v[12:13], -v[18:19]
	v_fma_f64 v[48:49], v[40:41], -0.5, v[78:79]
	v_add_f64 v[28:29], v[28:29], v[30:31]
	v_fma_f64 v[30:31], v[46:47], s[4:5], v[48:49]
	v_fma_f64 v[40:41], v[46:47], s[14:15], v[48:49]
	v_add_f64 v[48:49], v[14:15], -v[36:37]
	v_add_f64 v[46:47], v[20:21], -v[22:23]
	v_fma_f64 v[30:31], v[44:45], s[6:7], v[30:31]
	v_fma_f64 v[40:41], v[44:45], s[8:9], v[40:41]
	v_add_f64 v[46:47], v[46:47], v[50:51]
	v_fma_f64 v[44:45], v[28:29], s[2:3], v[30:31]
	v_add_f64 v[30:31], v[22:23], v[24:25]
	;; [unrolled: 2-line block ×3, first 2 shown]
	v_fma_f64 v[30:31], v[30:31], -0.5, v[60:61]
	v_add_f64 v[28:29], v[28:29], v[22:23]
	v_add_f64 v[22:23], v[22:23], -v[24:25]
	v_fma_f64 v[32:33], v[34:35], s[14:15], v[30:31]
	v_fma_f64 v[30:31], v[34:35], s[4:5], v[30:31]
	v_add_f64 v[28:29], v[28:29], v[24:25]
	v_fma_f64 v[32:33], v[48:49], s[6:7], v[32:33]
	v_fma_f64 v[30:31], v[48:49], s[8:9], v[30:31]
	v_add_f64 v[28:29], v[28:29], v[26:27]
	v_fma_f64 v[32:33], v[46:47], s[2:3], v[32:33]
	v_fma_f64 v[46:47], v[46:47], s[2:3], v[30:31]
	v_add_f64 v[30:31], v[20:21], v[26:27]
	v_add_f64 v[20:21], v[20:21], -v[26:27]
	v_fma_f64 v[30:31], v[30:31], -0.5, v[60:61]
	v_fma_f64 v[50:51], v[48:49], s[4:5], v[30:31]
	v_fma_f64 v[30:31], v[48:49], s[14:15], v[30:31]
	;; [unrolled: 1-line block ×4, first 2 shown]
	v_add_f64 v[34:35], v[14:15], v[36:37]
	v_fma_f64 v[60:61], v[52:53], s[2:3], v[50:51]
	v_fma_f64 v[76:77], v[52:53], s[2:3], v[30:31]
	v_fma_f64 v[48:49], v[34:35], -0.5, v[62:63]
	v_add_f64 v[34:35], v[18:19], -v[36:37]
	v_add_f64 v[30:31], v[62:63], v[12:13]
	v_fma_f64 v[26:27], v[20:21], s[4:5], v[48:49]
	v_add_f64 v[30:31], v[30:31], v[14:15]
	v_fma_f64 v[24:25], v[22:23], s[8:9], v[26:27]
	v_add_f64 v[26:27], v[12:13], -v[14:15]
	v_add_f64 v[30:31], v[30:31], v[36:37]
	v_add_f64 v[26:27], v[26:27], v[34:35]
	v_add_f64 v[30:31], v[30:31], v[18:19]
	v_fma_f64 v[34:35], v[26:27], s[2:3], v[24:25]
	v_fma_f64 v[24:25], v[20:21], s[14:15], v[48:49]
	v_fma_f64 v[24:25], v[22:23], s[6:7], v[24:25]
	v_fma_f64 v[48:49], v[26:27], s[2:3], v[24:25]
	v_add_f64 v[24:25], v[12:13], v[18:19]
	v_add_f64 v[12:13], v[14:15], -v[12:13]
	v_add_f64 v[14:15], v[36:37], -v[18:19]
	v_fma_f64 v[24:25], v[24:25], -0.5, v[62:63]
	v_add_f64 v[12:13], v[12:13], v[14:15]
	v_fma_f64 v[26:27], v[22:23], s[14:15], v[24:25]
	v_fma_f64 v[14:15], v[22:23], s[4:5], v[24:25]
	;; [unrolled: 1-line block ×6, first 2 shown]
	buffer_load_dword v12, off, s[20:23], 0 offset:300 ; 4-byte Folded Reload
	s_waitcnt vmcnt(0)
	ds_write_b128 v12, v[64:67]
	ds_write_b128 v12, v[72:75] offset:400
	ds_write_b128 v12, v[84:87] offset:800
	ds_write_b128 v12, v[80:83] offset:1200
	ds_write_b128 v12, v[68:71] offset:1600
	buffer_load_dword v12, off, s[20:23], 0 offset:304 ; 4-byte Folded Reload
	s_waitcnt vmcnt(0)
	ds_write_b128 v12, v[0:3]
	ds_write_b128 v12, v[8:11] offset:400
	ds_write_b128 v12, v[38:41] offset:800
	ds_write_b128 v12, v[42:45] offset:1200
	ds_write_b128 v12, v[4:7] offset:1600
	;; [unrolled: 7-line block ×3, first 2 shown]
	s_waitcnt lgkmcnt(0)
	s_barrier
	ds_read_b128 v[0:3], v16
	ds_read_b128 v[4:7], v16 offset:6000
	ds_read_b128 v[8:11], v16 offset:12000
	ds_read_b128 v[12:15], v16 offset:18000
	ds_read_b128 v[17:20], v16 offset:24000
	ds_read_b128 v[76:79], v16 offset:2000
	ds_read_b128 v[21:24], v16 offset:8000
	ds_read_b128 v[30:33], v16 offset:14000
	ds_read_b128 v[34:37], v16 offset:20000
	ds_read_b128 v[38:41], v16 offset:26000
	ds_read_b128 v[60:63], v16 offset:4000
	ds_read_b128 v[42:45], v16 offset:10000
	ds_read_b128 v[46:49], v16 offset:16000
	ds_read_b128 v[50:53], v16 offset:22000
	ds_read_b128 v[54:57], v16 offset:28000
	s_waitcnt lgkmcnt(13)
	v_mul_f64 v[25:26], v[170:171], v[6:7]
	s_waitcnt lgkmcnt(0)
	s_barrier
	v_fma_f64 v[58:59], v[168:169], v[4:5], v[25:26]
	v_mul_f64 v[4:5], v[170:171], v[4:5]
	v_fma_f64 v[4:5], v[168:169], v[6:7], -v[4:5]
	v_mul_f64 v[6:7], v[166:167], v[10:11]
	v_fma_f64 v[6:7], v[164:165], v[8:9], v[6:7]
	v_mul_f64 v[8:9], v[166:167], v[8:9]
	v_fma_f64 v[8:9], v[164:165], v[10:11], -v[8:9]
	v_mul_f64 v[10:11], v[162:163], v[14:15]
	;; [unrolled: 4-line block ×3, first 2 shown]
	v_mul_f64 v[14:15], v[182:183], v[48:49]
	v_fma_f64 v[70:71], v[156:157], v[17:18], v[12:13]
	v_mul_f64 v[12:13], v[158:159], v[17:18]
	v_mul_f64 v[17:18], v[178:179], v[52:53]
	v_fma_f64 v[86:87], v[156:157], v[19:20], -v[12:13]
	v_mul_f64 v[12:13], v[170:171], v[23:24]
	v_fma_f64 v[88:89], v[168:169], v[21:22], v[12:13]
	v_mul_f64 v[12:13], v[170:171], v[21:22]
	v_fma_f64 v[28:29], v[168:169], v[23:24], -v[12:13]
	v_mul_f64 v[12:13], v[166:167], v[32:33]
	v_fma_f64 v[22:23], v[180:181], v[46:47], v[14:15]
	v_mul_f64 v[14:15], v[182:183], v[46:47]
	v_add_f64 v[46:47], v[58:59], -v[6:7]
	v_fma_f64 v[24:25], v[176:177], v[50:51], v[17:18]
	v_mul_f64 v[17:18], v[178:179], v[50:51]
	v_fma_f64 v[90:91], v[164:165], v[30:31], v[12:13]
	v_mul_f64 v[12:13], v[166:167], v[30:31]
	v_fma_f64 v[14:15], v[180:181], v[48:49], -v[14:15]
	v_add_f64 v[48:49], v[70:71], -v[10:11]
	v_fma_f64 v[30:31], v[164:165], v[32:33], -v[12:13]
	v_mul_f64 v[12:13], v[162:163], v[36:37]
	v_add_f64 v[46:47], v[46:47], v[48:49]
	v_fma_f64 v[92:93], v[160:161], v[34:35], v[12:13]
	v_mul_f64 v[12:13], v[162:163], v[34:35]
	v_fma_f64 v[32:33], v[160:161], v[36:37], -v[12:13]
	v_mul_f64 v[12:13], v[158:159], v[40:41]
	v_fma_f64 v[36:37], v[176:177], v[52:53], -v[17:18]
	v_mul_f64 v[17:18], v[174:175], v[56:57]
	v_fma_f64 v[94:95], v[156:157], v[38:39], v[12:13]
	v_mul_f64 v[12:13], v[158:159], v[38:39]
	v_add_f64 v[38:39], v[0:1], v[58:59]
	v_fma_f64 v[26:27], v[172:173], v[54:55], v[17:18]
	v_mul_f64 v[17:18], v[174:175], v[54:55]
	v_fma_f64 v[34:35], v[156:157], v[40:41], -v[12:13]
	v_add_f64 v[38:39], v[38:39], v[6:7]
	v_mul_f64 v[12:13], v[186:187], v[44:45]
	v_add_f64 v[40:41], v[4:5], -v[86:87]
	v_fma_f64 v[18:19], v[172:173], v[56:57], -v[17:18]
	v_add_f64 v[50:51], v[26:27], -v[24:25]
	v_add_f64 v[54:55], v[24:25], -v[26:27]
	;; [unrolled: 1-line block ×3, first 2 shown]
	v_add_f64 v[38:39], v[38:39], v[10:11]
	v_fma_f64 v[20:21], v[184:185], v[42:43], v[12:13]
	v_mul_f64 v[12:13], v[186:187], v[42:43]
	v_add_f64 v[64:65], v[38:39], v[70:71]
	v_add_f64 v[38:39], v[6:7], v[10:11]
	v_fma_f64 v[12:13], v[184:185], v[44:45], -v[12:13]
	v_add_f64 v[44:45], v[8:9], -v[82:83]
	v_add_f64 v[52:53], v[22:23], -v[20:21]
	v_fma_f64 v[38:39], v[38:39], -0.5, v[0:1]
	v_add_f64 v[52:53], v[52:53], v[54:55]
	v_fma_f64 v[42:43], v[40:41], s[14:15], v[38:39]
	v_fma_f64 v[38:39], v[40:41], s[4:5], v[38:39]
	;; [unrolled: 1-line block ×6, first 2 shown]
	v_add_f64 v[38:39], v[58:59], v[70:71]
	v_add_f64 v[42:43], v[6:7], -v[58:59]
	v_add_f64 v[46:47], v[10:11], -v[70:71]
	;; [unrolled: 1-line block ×3, first 2 shown]
	v_fma_f64 v[0:1], v[38:39], -0.5, v[0:1]
	v_add_f64 v[42:43], v[42:43], v[46:47]
	v_add_f64 v[46:47], v[90:91], -v[92:93]
	v_fma_f64 v[38:39], v[44:45], s[4:5], v[0:1]
	v_fma_f64 v[0:1], v[44:45], s[14:15], v[0:1]
	v_add_f64 v[44:45], v[88:89], -v[94:95]
	v_fma_f64 v[38:39], v[40:41], s[6:7], v[38:39]
	v_fma_f64 v[0:1], v[40:41], s[8:9], v[0:1]
	;; [unrolled: 1-line block ×4, first 2 shown]
	v_add_f64 v[0:1], v[2:3], v[4:5]
	v_add_f64 v[38:39], v[58:59], -v[70:71]
	v_add_f64 v[42:43], v[86:87], -v[82:83]
	v_add_f64 v[0:1], v[0:1], v[8:9]
	v_add_f64 v[0:1], v[0:1], v[82:83]
	;; [unrolled: 1-line block ×4, first 2 shown]
	v_fma_f64 v[0:1], v[0:1], -0.5, v[2:3]
	v_fma_f64 v[40:41], v[38:39], s[4:5], v[0:1]
	v_fma_f64 v[0:1], v[38:39], s[14:15], v[0:1]
	;; [unrolled: 1-line block ×3, first 2 shown]
	v_add_f64 v[40:41], v[4:5], -v[8:9]
	v_fma_f64 v[0:1], v[6:7], s[6:7], v[0:1]
	v_add_f64 v[40:41], v[40:41], v[42:43]
	v_add_f64 v[42:43], v[92:93], -v[94:95]
	v_fma_f64 v[70:71], v[40:41], s[2:3], v[0:1]
	v_add_f64 v[0:1], v[4:5], v[86:87]
	v_add_f64 v[4:5], v[8:9], -v[4:5]
	v_add_f64 v[8:9], v[82:83], -v[86:87]
	v_fma_f64 v[74:75], v[40:41], s[2:3], v[10:11]
	v_add_f64 v[10:11], v[30:31], -v[32:33]
	v_add_f64 v[40:41], v[90:91], -v[88:89]
	v_fma_f64 v[0:1], v[0:1], -0.5, v[2:3]
	v_add_f64 v[4:5], v[4:5], v[8:9]
	v_add_f64 v[8:9], v[88:89], -v[90:91]
	v_add_f64 v[40:41], v[40:41], v[42:43]
	v_fma_f64 v[2:3], v[6:7], s[14:15], v[0:1]
	v_fma_f64 v[0:1], v[6:7], s[4:5], v[0:1]
	v_add_f64 v[6:7], v[28:29], -v[34:35]
	v_fma_f64 v[2:3], v[38:39], s[8:9], v[2:3]
	v_fma_f64 v[0:1], v[38:39], s[6:7], v[0:1]
	v_add_f64 v[38:39], v[94:95], -v[92:93]
	v_fma_f64 v[86:87], v[4:5], s[2:3], v[2:3]
	v_add_f64 v[2:3], v[90:91], v[92:93]
	v_fma_f64 v[82:83], v[4:5], s[2:3], v[0:1]
	v_add_f64 v[38:39], v[8:9], v[38:39]
	v_add_f64 v[0:1], v[76:77], v[88:89]
	v_fma_f64 v[2:3], v[2:3], -0.5, v[76:77]
	v_add_f64 v[0:1], v[0:1], v[90:91]
	v_fma_f64 v[4:5], v[6:7], s[14:15], v[2:3]
	v_fma_f64 v[2:3], v[6:7], s[4:5], v[2:3]
	v_add_f64 v[0:1], v[0:1], v[92:93]
	v_fma_f64 v[4:5], v[10:11], s[6:7], v[4:5]
	v_fma_f64 v[2:3], v[10:11], s[8:9], v[2:3]
	;; [unrolled: 3-line block ×3, first 2 shown]
	v_add_f64 v[2:3], v[88:89], v[94:95]
	v_fma_f64 v[2:3], v[2:3], -0.5, v[76:77]
	v_fma_f64 v[38:39], v[10:11], s[4:5], v[2:3]
	v_fma_f64 v[2:3], v[10:11], s[14:15], v[2:3]
	;; [unrolled: 1-line block ×4, first 2 shown]
	v_add_f64 v[6:7], v[30:31], v[32:33]
	v_fma_f64 v[38:39], v[40:41], s[2:3], v[38:39]
	v_fma_f64 v[42:43], v[40:41], s[2:3], v[2:3]
	v_fma_f64 v[6:7], v[6:7], -0.5, v[78:79]
	v_add_f64 v[40:41], v[28:29], -v[30:31]
	v_add_f64 v[2:3], v[78:79], v[28:29]
	v_fma_f64 v[10:11], v[44:45], s[4:5], v[6:7]
	v_fma_f64 v[6:7], v[44:45], s[14:15], v[6:7]
	v_add_f64 v[40:41], v[40:41], v[48:49]
	v_add_f64 v[2:3], v[2:3], v[30:31]
	v_fma_f64 v[10:11], v[46:47], s[8:9], v[10:11]
	v_fma_f64 v[6:7], v[46:47], s[6:7], v[6:7]
	v_add_f64 v[2:3], v[2:3], v[32:33]
	v_fma_f64 v[10:11], v[40:41], s[2:3], v[10:11]
	v_fma_f64 v[6:7], v[40:41], s[2:3], v[6:7]
	v_add_f64 v[40:41], v[28:29], v[34:35]
	v_add_f64 v[28:29], v[30:31], -v[28:29]
	v_add_f64 v[30:31], v[32:33], -v[34:35]
	v_add_f64 v[2:3], v[2:3], v[34:35]
	v_add_f64 v[34:35], v[12:13], -v[18:19]
	v_fma_f64 v[48:49], v[40:41], -0.5, v[78:79]
	v_add_f64 v[28:29], v[28:29], v[30:31]
	v_fma_f64 v[30:31], v[46:47], s[4:5], v[48:49]
	v_fma_f64 v[40:41], v[46:47], s[14:15], v[48:49]
	v_add_f64 v[48:49], v[14:15], -v[36:37]
	v_add_f64 v[46:47], v[20:21], -v[22:23]
	v_fma_f64 v[30:31], v[44:45], s[6:7], v[30:31]
	v_fma_f64 v[40:41], v[44:45], s[8:9], v[40:41]
	v_add_f64 v[46:47], v[46:47], v[50:51]
	v_fma_f64 v[44:45], v[28:29], s[2:3], v[30:31]
	v_add_f64 v[30:31], v[22:23], v[24:25]
	;; [unrolled: 2-line block ×3, first 2 shown]
	ds_write_b128 v16, v[64:67]
	ds_write_b128 v16, v[72:75] offset:2000
	ds_write_b128 v16, v[84:87] offset:4000
	;; [unrolled: 1-line block ×9, first 2 shown]
	buffer_load_dword v0, off, s[20:23], 0 offset:312 ; 4-byte Folded Reload
	v_fma_f64 v[30:31], v[30:31], -0.5, v[60:61]
	v_add_f64 v[28:29], v[28:29], v[22:23]
	v_add_f64 v[22:23], v[22:23], -v[24:25]
	v_fma_f64 v[32:33], v[34:35], s[14:15], v[30:31]
	v_fma_f64 v[30:31], v[34:35], s[4:5], v[30:31]
	v_add_f64 v[28:29], v[28:29], v[24:25]
	v_fma_f64 v[32:33], v[48:49], s[6:7], v[32:33]
	v_fma_f64 v[30:31], v[48:49], s[8:9], v[30:31]
	v_add_f64 v[28:29], v[28:29], v[26:27]
	;; [unrolled: 3-line block ×3, first 2 shown]
	v_add_f64 v[20:21], v[20:21], -v[26:27]
	v_fma_f64 v[30:31], v[30:31], -0.5, v[60:61]
	v_fma_f64 v[50:51], v[48:49], s[4:5], v[30:31]
	v_fma_f64 v[30:31], v[48:49], s[14:15], v[30:31]
	;; [unrolled: 1-line block ×4, first 2 shown]
	v_add_f64 v[34:35], v[14:15], v[36:37]
	v_fma_f64 v[50:51], v[52:53], s[2:3], v[50:51]
	v_fma_f64 v[54:55], v[52:53], s[2:3], v[30:31]
	v_fma_f64 v[48:49], v[34:35], -0.5, v[62:63]
	v_add_f64 v[34:35], v[18:19], -v[36:37]
	v_add_f64 v[30:31], v[62:63], v[12:13]
	v_fma_f64 v[26:27], v[20:21], s[4:5], v[48:49]
	v_add_f64 v[30:31], v[30:31], v[14:15]
	v_fma_f64 v[24:25], v[22:23], s[8:9], v[26:27]
	v_add_f64 v[26:27], v[12:13], -v[14:15]
	v_add_f64 v[30:31], v[30:31], v[36:37]
	v_add_f64 v[26:27], v[26:27], v[34:35]
	;; [unrolled: 1-line block ×3, first 2 shown]
	v_fma_f64 v[34:35], v[26:27], s[2:3], v[24:25]
	v_fma_f64 v[24:25], v[20:21], s[14:15], v[48:49]
	;; [unrolled: 1-line block ×4, first 2 shown]
	v_add_f64 v[24:25], v[12:13], v[18:19]
	v_add_f64 v[12:13], v[14:15], -v[12:13]
	v_add_f64 v[14:15], v[36:37], -v[18:19]
	v_fma_f64 v[24:25], v[24:25], -0.5, v[62:63]
	v_add_f64 v[12:13], v[12:13], v[14:15]
	v_fma_f64 v[26:27], v[22:23], s[14:15], v[24:25]
	v_fma_f64 v[14:15], v[22:23], s[4:5], v[24:25]
	;; [unrolled: 1-line block ×6, first 2 shown]
	s_waitcnt vmcnt(0)
	ds_write_b128 v0, v[28:31] offset:20000
	ds_write_b128 v0, v[32:35] offset:22000
	;; [unrolled: 1-line block ×5, first 2 shown]
	s_waitcnt lgkmcnt(0)
	s_barrier
	ds_read_b128 v[0:3], v16
	ds_read_b128 v[4:7], v16 offset:10000
	ds_read_b128 v[8:11], v16 offset:20000
	;; [unrolled: 1-line block ×14, first 2 shown]
	s_waitcnt lgkmcnt(13)
	v_mul_f64 v[61:62], v[194:195], v[6:7]
	s_mov_b32 s2, 0x9cbd821e
	s_mov_b32 s3, 0x3f4179ec
	v_fma_f64 v[61:62], v[192:193], v[4:5], v[61:62]
	v_mul_f64 v[4:5], v[194:195], v[4:5]
	v_fma_f64 v[63:64], v[192:193], v[6:7], -v[4:5]
	s_waitcnt lgkmcnt(12)
	v_mul_f64 v[4:5], v[190:191], v[10:11]
	v_fma_f64 v[65:66], v[188:189], v[8:9], v[4:5]
	v_mul_f64 v[4:5], v[190:191], v[8:9]
	v_add_f64 v[6:7], v[61:62], v[65:66]
	v_fma_f64 v[10:11], v[188:189], v[10:11], -v[4:5]
	s_waitcnt lgkmcnt(10)
	v_mul_f64 v[4:5], v[202:203], v[19:20]
	v_fma_f64 v[6:7], v[6:7], -0.5, v[0:1]
	v_add_f64 v[8:9], v[63:64], -v[10:11]
	v_fma_f64 v[67:68], v[200:201], v[17:18], v[4:5]
	v_mul_f64 v[4:5], v[202:203], v[17:18]
	v_add_f64 v[17:18], v[61:62], -v[65:66]
	v_fma_f64 v[69:70], v[200:201], v[19:20], -v[4:5]
	s_waitcnt lgkmcnt(9)
	v_mul_f64 v[4:5], v[198:199], v[23:24]
	v_fma_f64 v[71:72], v[196:197], v[21:22], v[4:5]
	v_mul_f64 v[4:5], v[198:199], v[21:22]
	v_add_f64 v[19:20], v[67:68], v[71:72]
	v_fma_f64 v[23:24], v[196:197], v[23:24], -v[4:5]
	s_waitcnt lgkmcnt(7)
	v_mul_f64 v[4:5], v[210:211], v[31:32]
	v_fma_f64 v[19:20], v[19:20], -0.5, v[12:13]
	v_add_f64 v[21:22], v[69:70], -v[23:24]
	v_fma_f64 v[73:74], v[208:209], v[29:30], v[4:5]
	v_mul_f64 v[4:5], v[210:211], v[29:30]
	v_add_f64 v[29:30], v[67:68], -v[71:72]
	;; [unrolled: 14-line block ×4, first 2 shown]
	v_fma_f64 v[87:88], v[224:225], v[55:56], -v[4:5]
	s_waitcnt lgkmcnt(0)
	v_mul_f64 v[4:5], v[222:223], v[59:60]
	v_fma_f64 v[89:90], v[220:221], v[57:58], v[4:5]
	v_mul_f64 v[4:5], v[222:223], v[57:58]
	v_add_f64 v[55:56], v[85:86], v[89:90]
	v_fma_f64 v[59:60], v[220:221], v[59:60], -v[4:5]
	v_add_f64 v[4:5], v[0:1], v[61:62]
	v_fma_f64 v[0:1], v[8:9], s[10:11], v[6:7]
	v_fma_f64 v[8:9], v[8:9], s[16:17], v[6:7]
	v_add_f64 v[6:7], v[2:3], v[63:64]
	v_add_f64 v[61:62], v[85:86], -v[89:90]
	v_fma_f64 v[55:56], v[55:56], -0.5, v[49:50]
	v_add_f64 v[57:58], v[87:88], -v[59:60]
	v_add_f64 v[4:5], v[4:5], v[65:66]
	v_add_f64 v[6:7], v[6:7], v[10:11]
	v_add_f64 v[10:11], v[63:64], v[10:11]
	v_fma_f64 v[10:11], v[10:11], -0.5, v[2:3]
	v_fma_f64 v[2:3], v[17:18], s[16:17], v[10:11]
	v_fma_f64 v[10:11], v[17:18], s[10:11], v[10:11]
	v_add_f64 v[17:18], v[12:13], v[67:68]
	v_fma_f64 v[12:13], v[21:22], s[10:11], v[19:20]
	v_fma_f64 v[21:22], v[21:22], s[16:17], v[19:20]
	v_add_f64 v[19:20], v[14:15], v[69:70]
	v_add_f64 v[17:18], v[17:18], v[71:72]
	v_add_f64 v[19:20], v[19:20], v[23:24]
	v_add_f64 v[23:24], v[69:70], v[23:24]
	v_fma_f64 v[23:24], v[23:24], -0.5, v[14:15]
	v_fma_f64 v[14:15], v[29:30], s[16:17], v[23:24]
	v_fma_f64 v[23:24], v[29:30], s[10:11], v[23:24]
	v_add_f64 v[29:30], v[25:26], v[73:74]
	v_fma_f64 v[25:26], v[33:34], s[10:11], v[31:32]
	v_fma_f64 v[33:34], v[33:34], s[16:17], v[31:32]
	v_add_f64 v[31:32], v[27:28], v[75:76]
	;; [unrolled: 10-line block ×4, first 2 shown]
	v_add_f64 v[53:54], v[53:54], v[89:90]
	v_add_f64 v[55:56], v[55:56], v[59:60]
	;; [unrolled: 1-line block ×3, first 2 shown]
	v_fma_f64 v[59:60], v[59:60], -0.5, v[51:52]
	v_fma_f64 v[51:52], v[61:62], s[16:17], v[59:60]
	v_fma_f64 v[59:60], v[61:62], s[10:11], v[59:60]
	ds_write_b128 v16, v[4:7]
	ds_write_b128 v16, v[0:3] offset:10000
	ds_write_b128 v16, v[8:11] offset:20000
	;; [unrolled: 1-line block ×14, first 2 shown]
	s_waitcnt lgkmcnt(0)
	s_barrier
	ds_read_b128 v[0:3], v16
	buffer_load_dword v6, off, s[20:23], 0 offset:152 ; 4-byte Folded Reload
	buffer_load_dword v7, off, s[20:23], 0 offset:156 ; 4-byte Folded Reload
	;; [unrolled: 1-line block ×4, first 2 shown]
	s_waitcnt vmcnt(0) lgkmcnt(0)
	v_mul_f64 v[4:5], v[8:9], v[2:3]
	v_fma_f64 v[4:5], v[6:7], v[0:1], v[4:5]
	v_mul_f64 v[0:1], v[8:9], v[0:1]
	v_mov_b32_e32 v8, s13
	v_mul_f64 v[4:5], v[4:5], s[2:3]
	v_fma_f64 v[0:1], v[6:7], v[2:3], -v[0:1]
	buffer_load_dword v2, off, s[20:23], 0 offset:248 ; 4-byte Folded Reload
	v_mul_f64 v[6:7], v[0:1], s[2:3]
	s_waitcnt vmcnt(0)
	v_mad_u64_u32 v[0:1], s[4:5], s0, v2, 0
	v_mad_u64_u32 v[1:2], s[4:5], s1, v2, v[1:2]
	buffer_load_dword v2, off, s[20:23], 0 offset:32 ; 4-byte Folded Reload
	buffer_load_dword v3, off, s[20:23], 0 offset:36 ; 4-byte Folded Reload
	s_mul_i32 s4, s1, 0x1770
	v_lshlrev_b64 v[0:1], 4, v[0:1]
	s_mul_hi_u32 s5, s0, 0x1770
	s_add_i32 s4, s5, s4
	s_mul_i32 s5, s0, 0x1770
	s_mulk_i32 s1, 0xaa10
	s_sub_i32 s1, s1, s0
	s_waitcnt vmcnt(0)
	v_lshlrev_b64 v[2:3], 4, v[2:3]
	v_add_co_u32_e32 v2, vcc, s12, v2
	v_addc_co_u32_e32 v3, vcc, v8, v3, vcc
	v_add_co_u32_e32 v8, vcc, v2, v0
	v_addc_co_u32_e32 v9, vcc, v3, v1, vcc
	global_store_dwordx4 v[8:9], v[4:7], off
	ds_read_b128 v[0:3], v16 offset:6000
	buffer_load_dword v10, off, s[20:23], 0 offset:184 ; 4-byte Folded Reload
	buffer_load_dword v11, off, s[20:23], 0 offset:188 ; 4-byte Folded Reload
	buffer_load_dword v12, off, s[20:23], 0 offset:192 ; 4-byte Folded Reload
	buffer_load_dword v13, off, s[20:23], 0 offset:196 ; 4-byte Folded Reload
	v_add_co_u32_e32 v8, vcc, s5, v8
	s_waitcnt vmcnt(0) lgkmcnt(0)
	v_mul_f64 v[4:5], v[12:13], v[2:3]
	v_fma_f64 v[4:5], v[10:11], v[0:1], v[4:5]
	v_mul_f64 v[0:1], v[12:13], v[0:1]
	v_mul_f64 v[4:5], v[4:5], s[2:3]
	v_fma_f64 v[0:1], v[10:11], v[2:3], -v[0:1]
	v_mul_f64 v[6:7], v[0:1], s[2:3]
	v_mov_b32_e32 v0, s4
	v_addc_co_u32_e32 v9, vcc, v9, v0, vcc
	ds_read_b128 v[0:3], v16 offset:12000
	global_store_dwordx4 v[8:9], v[4:7], off
	buffer_load_dword v10, off, s[20:23], 0 offset:200 ; 4-byte Folded Reload
	buffer_load_dword v11, off, s[20:23], 0 offset:204 ; 4-byte Folded Reload
	buffer_load_dword v12, off, s[20:23], 0 offset:208 ; 4-byte Folded Reload
	buffer_load_dword v13, off, s[20:23], 0 offset:212 ; 4-byte Folded Reload
	v_add_co_u32_e32 v8, vcc, s5, v8
	s_waitcnt vmcnt(0) lgkmcnt(0)
	v_mul_f64 v[4:5], v[12:13], v[2:3]
	v_fma_f64 v[4:5], v[10:11], v[0:1], v[4:5]
	v_mul_f64 v[0:1], v[12:13], v[0:1]
	v_mul_f64 v[4:5], v[4:5], s[2:3]
	v_fma_f64 v[0:1], v[10:11], v[2:3], -v[0:1]
	v_mul_f64 v[6:7], v[0:1], s[2:3]
	v_mov_b32_e32 v0, s4
	v_addc_co_u32_e32 v9, vcc, v9, v0, vcc
	ds_read_b128 v[0:3], v16 offset:18000
	global_store_dwordx4 v[8:9], v[4:7], off
	;; [unrolled: 16-line block ×4, first 2 shown]
	buffer_load_dword v10, off, s[20:23], 0 offset:88 ; 4-byte Folded Reload
	buffer_load_dword v11, off, s[20:23], 0 offset:92 ; 4-byte Folded Reload
	buffer_load_dword v12, off, s[20:23], 0 offset:96 ; 4-byte Folded Reload
	buffer_load_dword v13, off, s[20:23], 0 offset:100 ; 4-byte Folded Reload
	s_waitcnt vmcnt(0) lgkmcnt(0)
	v_mul_f64 v[4:5], v[12:13], v[2:3]
	v_fma_f64 v[4:5], v[10:11], v[0:1], v[4:5]
	v_mul_f64 v[0:1], v[12:13], v[0:1]
	v_mul_f64 v[4:5], v[4:5], s[2:3]
	v_fma_f64 v[0:1], v[10:11], v[2:3], -v[0:1]
	v_mov_b32_e32 v10, 0xffffaa10
	v_mad_u64_u32 v[8:9], s[6:7], s0, v10, v[8:9]
	v_add_u32_e32 v9, s1, v9
	v_mul_f64 v[6:7], v[0:1], s[2:3]
	ds_read_b128 v[0:3], v16 offset:8000
	global_store_dwordx4 v[8:9], v[4:7], off
	buffer_load_dword v11, off, s[20:23], 0 offset:104 ; 4-byte Folded Reload
	buffer_load_dword v12, off, s[20:23], 0 offset:108 ; 4-byte Folded Reload
	buffer_load_dword v13, off, s[20:23], 0 offset:112 ; 4-byte Folded Reload
	buffer_load_dword v14, off, s[20:23], 0 offset:116 ; 4-byte Folded Reload
	v_add_co_u32_e32 v8, vcc, s5, v8
	s_waitcnt vmcnt(0) lgkmcnt(0)
	v_mul_f64 v[4:5], v[13:14], v[2:3]
	v_fma_f64 v[4:5], v[11:12], v[0:1], v[4:5]
	v_mul_f64 v[0:1], v[13:14], v[0:1]
	v_mul_f64 v[4:5], v[4:5], s[2:3]
	v_fma_f64 v[0:1], v[11:12], v[2:3], -v[0:1]
	v_mul_f64 v[6:7], v[0:1], s[2:3]
	v_mov_b32_e32 v0, s4
	v_addc_co_u32_e32 v9, vcc, v9, v0, vcc
	ds_read_b128 v[0:3], v16 offset:14000
	global_store_dwordx4 v[8:9], v[4:7], off
	buffer_load_dword v11, off, s[20:23], 0 offset:120 ; 4-byte Folded Reload
	buffer_load_dword v12, off, s[20:23], 0 offset:124 ; 4-byte Folded Reload
	buffer_load_dword v13, off, s[20:23], 0 offset:128 ; 4-byte Folded Reload
	buffer_load_dword v14, off, s[20:23], 0 offset:132 ; 4-byte Folded Reload
	v_add_co_u32_e32 v8, vcc, s5, v8
	s_waitcnt vmcnt(0) lgkmcnt(0)
	v_mul_f64 v[4:5], v[13:14], v[2:3]
	v_fma_f64 v[4:5], v[11:12], v[0:1], v[4:5]
	v_mul_f64 v[0:1], v[13:14], v[0:1]
	v_mul_f64 v[4:5], v[4:5], s[2:3]
	v_fma_f64 v[0:1], v[11:12], v[2:3], -v[0:1]
	v_mul_f64 v[6:7], v[0:1], s[2:3]
	v_mov_b32_e32 v0, s4
	v_addc_co_u32_e32 v9, vcc, v9, v0, vcc
	;; [unrolled: 16-line block ×4, first 2 shown]
	ds_read_b128 v[0:3], v16 offset:4000
	global_store_dwordx4 v[8:9], v[4:7], off
	buffer_load_dword v11, off, s[20:23], 0 offset:56 ; 4-byte Folded Reload
	buffer_load_dword v12, off, s[20:23], 0 offset:60 ; 4-byte Folded Reload
	;; [unrolled: 1-line block ×4, first 2 shown]
	v_mad_u64_u32 v[8:9], s[6:7], s0, v10, v[8:9]
	v_add_u32_e32 v9, s1, v9
	s_waitcnt vmcnt(0) lgkmcnt(0)
	v_mul_f64 v[4:5], v[13:14], v[2:3]
	v_fma_f64 v[4:5], v[11:12], v[0:1], v[4:5]
	v_mul_f64 v[0:1], v[13:14], v[0:1]
	v_mul_f64 v[4:5], v[4:5], s[2:3]
	v_fma_f64 v[0:1], v[11:12], v[2:3], -v[0:1]
	v_mul_f64 v[6:7], v[0:1], s[2:3]
	ds_read_b128 v[0:3], v16 offset:10000
	global_store_dwordx4 v[8:9], v[4:7], off
	buffer_load_dword v10, off, s[20:23], 0 offset:72 ; 4-byte Folded Reload
	buffer_load_dword v11, off, s[20:23], 0 offset:76 ; 4-byte Folded Reload
	;; [unrolled: 1-line block ×4, first 2 shown]
	v_add_co_u32_e32 v8, vcc, s5, v8
	s_waitcnt vmcnt(0) lgkmcnt(0)
	v_mul_f64 v[4:5], v[12:13], v[2:3]
	v_fma_f64 v[4:5], v[10:11], v[0:1], v[4:5]
	v_mul_f64 v[0:1], v[12:13], v[0:1]
	v_mul_f64 v[4:5], v[4:5], s[2:3]
	v_fma_f64 v[0:1], v[10:11], v[2:3], -v[0:1]
	v_mul_f64 v[6:7], v[0:1], s[2:3]
	v_mov_b32_e32 v0, s4
	v_addc_co_u32_e32 v9, vcc, v9, v0, vcc
	ds_read_b128 v[0:3], v16 offset:16000
	global_store_dwordx4 v[8:9], v[4:7], off
	buffer_load_dword v10, off, s[20:23], 0 offset:16 ; 4-byte Folded Reload
	buffer_load_dword v11, off, s[20:23], 0 offset:20 ; 4-byte Folded Reload
	;; [unrolled: 1-line block ×4, first 2 shown]
	v_add_co_u32_e32 v8, vcc, s5, v8
	s_waitcnt vmcnt(0) lgkmcnt(0)
	v_mul_f64 v[4:5], v[12:13], v[2:3]
	v_fma_f64 v[4:5], v[10:11], v[0:1], v[4:5]
	v_mul_f64 v[0:1], v[12:13], v[0:1]
	v_mul_f64 v[4:5], v[4:5], s[2:3]
	v_fma_f64 v[0:1], v[10:11], v[2:3], -v[0:1]
	v_mul_f64 v[6:7], v[0:1], s[2:3]
	v_mov_b32_e32 v0, s4
	v_addc_co_u32_e32 v9, vcc, v9, v0, vcc
	ds_read_b128 v[0:3], v16 offset:22000
	global_store_dwordx4 v[8:9], v[4:7], off
	buffer_load_dword v10, off, s[20:23], 0 ; 4-byte Folded Reload
	buffer_load_dword v11, off, s[20:23], 0 offset:4 ; 4-byte Folded Reload
	buffer_load_dword v12, off, s[20:23], 0 offset:8 ; 4-byte Folded Reload
	buffer_load_dword v13, off, s[20:23], 0 offset:12 ; 4-byte Folded Reload
	v_add_co_u32_e32 v8, vcc, s5, v8
	s_waitcnt vmcnt(0) lgkmcnt(0)
	v_mul_f64 v[4:5], v[12:13], v[2:3]
	v_fma_f64 v[4:5], v[10:11], v[0:1], v[4:5]
	v_mul_f64 v[0:1], v[12:13], v[0:1]
	v_mul_f64 v[4:5], v[4:5], s[2:3]
	v_fma_f64 v[0:1], v[10:11], v[2:3], -v[0:1]
	v_mul_f64 v[6:7], v[0:1], s[2:3]
	v_mov_b32_e32 v0, s4
	v_addc_co_u32_e32 v9, vcc, v9, v0, vcc
	ds_read_b128 v[0:3], v16 offset:28000
	global_store_dwordx4 v[8:9], v[4:7], off
	buffer_load_dword v10, off, s[20:23], 0 offset:40 ; 4-byte Folded Reload
	buffer_load_dword v11, off, s[20:23], 0 offset:44 ; 4-byte Folded Reload
	;; [unrolled: 1-line block ×4, first 2 shown]
	s_waitcnt vmcnt(0) lgkmcnt(0)
	v_mul_f64 v[4:5], v[12:13], v[2:3]
	v_fma_f64 v[4:5], v[10:11], v[0:1], v[4:5]
	v_mul_f64 v[0:1], v[12:13], v[0:1]
	v_mul_f64 v[4:5], v[4:5], s[2:3]
	v_fma_f64 v[0:1], v[10:11], v[2:3], -v[0:1]
	v_mul_f64 v[6:7], v[0:1], s[2:3]
	v_add_co_u32_e32 v0, vcc, s5, v8
	v_mov_b32_e32 v1, s4
	v_addc_co_u32_e32 v1, vcc, v9, v1, vcc
	global_store_dwordx4 v[0:1], v[4:7], off
.LBB0_2:
	s_endpgm
	.section	.rodata,"a",@progbits
	.p2align	6, 0x0
	.amdhsa_kernel bluestein_single_fwd_len1875_dim1_dp_op_CI_CI
		.amdhsa_group_segment_fixed_size 60000
		.amdhsa_private_segment_fixed_size 320
		.amdhsa_kernarg_size 104
		.amdhsa_user_sgpr_count 6
		.amdhsa_user_sgpr_private_segment_buffer 1
		.amdhsa_user_sgpr_dispatch_ptr 0
		.amdhsa_user_sgpr_queue_ptr 0
		.amdhsa_user_sgpr_kernarg_segment_ptr 1
		.amdhsa_user_sgpr_dispatch_id 0
		.amdhsa_user_sgpr_flat_scratch_init 0
		.amdhsa_user_sgpr_private_segment_size 0
		.amdhsa_uses_dynamic_stack 0
		.amdhsa_system_sgpr_private_segment_wavefront_offset 1
		.amdhsa_system_sgpr_workgroup_id_x 1
		.amdhsa_system_sgpr_workgroup_id_y 0
		.amdhsa_system_sgpr_workgroup_id_z 0
		.amdhsa_system_sgpr_workgroup_info 0
		.amdhsa_system_vgpr_workitem_id 0
		.amdhsa_next_free_vgpr 256
		.amdhsa_next_free_sgpr 24
		.amdhsa_reserve_vcc 1
		.amdhsa_reserve_flat_scratch 0
		.amdhsa_float_round_mode_32 0
		.amdhsa_float_round_mode_16_64 0
		.amdhsa_float_denorm_mode_32 3
		.amdhsa_float_denorm_mode_16_64 3
		.amdhsa_dx10_clamp 1
		.amdhsa_ieee_mode 1
		.amdhsa_fp16_overflow 0
		.amdhsa_exception_fp_ieee_invalid_op 0
		.amdhsa_exception_fp_denorm_src 0
		.amdhsa_exception_fp_ieee_div_zero 0
		.amdhsa_exception_fp_ieee_overflow 0
		.amdhsa_exception_fp_ieee_underflow 0
		.amdhsa_exception_fp_ieee_inexact 0
		.amdhsa_exception_int_div_zero 0
	.end_amdhsa_kernel
	.text
.Lfunc_end0:
	.size	bluestein_single_fwd_len1875_dim1_dp_op_CI_CI, .Lfunc_end0-bluestein_single_fwd_len1875_dim1_dp_op_CI_CI
                                        ; -- End function
	.section	.AMDGPU.csdata,"",@progbits
; Kernel info:
; codeLenInByte = 23848
; NumSgprs: 28
; NumVgprs: 256
; ScratchSize: 320
; MemoryBound: 0
; FloatMode: 240
; IeeeMode: 1
; LDSByteSize: 60000 bytes/workgroup (compile time only)
; SGPRBlocks: 3
; VGPRBlocks: 63
; NumSGPRsForWavesPerEU: 28
; NumVGPRsForWavesPerEU: 256
; Occupancy: 1
; WaveLimiterHint : 1
; COMPUTE_PGM_RSRC2:SCRATCH_EN: 1
; COMPUTE_PGM_RSRC2:USER_SGPR: 6
; COMPUTE_PGM_RSRC2:TRAP_HANDLER: 0
; COMPUTE_PGM_RSRC2:TGID_X_EN: 1
; COMPUTE_PGM_RSRC2:TGID_Y_EN: 0
; COMPUTE_PGM_RSRC2:TGID_Z_EN: 0
; COMPUTE_PGM_RSRC2:TIDIG_COMP_CNT: 0
	.type	__hip_cuid_c6debf174dfd7c93,@object ; @__hip_cuid_c6debf174dfd7c93
	.section	.bss,"aw",@nobits
	.globl	__hip_cuid_c6debf174dfd7c93
__hip_cuid_c6debf174dfd7c93:
	.byte	0                               ; 0x0
	.size	__hip_cuid_c6debf174dfd7c93, 1

	.ident	"AMD clang version 19.0.0git (https://github.com/RadeonOpenCompute/llvm-project roc-6.4.0 25133 c7fe45cf4b819c5991fe208aaa96edf142730f1d)"
	.section	".note.GNU-stack","",@progbits
	.addrsig
	.addrsig_sym __hip_cuid_c6debf174dfd7c93
	.amdgpu_metadata
---
amdhsa.kernels:
  - .args:
      - .actual_access:  read_only
        .address_space:  global
        .offset:         0
        .size:           8
        .value_kind:     global_buffer
      - .actual_access:  read_only
        .address_space:  global
        .offset:         8
        .size:           8
        .value_kind:     global_buffer
      - .actual_access:  read_only
        .address_space:  global
        .offset:         16
        .size:           8
        .value_kind:     global_buffer
      - .actual_access:  read_only
        .address_space:  global
        .offset:         24
        .size:           8
        .value_kind:     global_buffer
      - .actual_access:  read_only
        .address_space:  global
        .offset:         32
        .size:           8
        .value_kind:     global_buffer
      - .offset:         40
        .size:           8
        .value_kind:     by_value
      - .address_space:  global
        .offset:         48
        .size:           8
        .value_kind:     global_buffer
      - .address_space:  global
        .offset:         56
        .size:           8
        .value_kind:     global_buffer
      - .address_space:  global
        .offset:         64
        .size:           8
        .value_kind:     global_buffer
      - .address_space:  global
        .offset:         72
        .size:           8
        .value_kind:     global_buffer
      - .offset:         80
        .size:           4
        .value_kind:     by_value
      - .address_space:  global
        .offset:         88
        .size:           8
        .value_kind:     global_buffer
      - .address_space:  global
        .offset:         96
        .size:           8
        .value_kind:     global_buffer
    .group_segment_fixed_size: 60000
    .kernarg_segment_align: 8
    .kernarg_segment_size: 104
    .language:       OpenCL C
    .language_version:
      - 2
      - 0
    .max_flat_workgroup_size: 250
    .name:           bluestein_single_fwd_len1875_dim1_dp_op_CI_CI
    .private_segment_fixed_size: 320
    .sgpr_count:     28
    .sgpr_spill_count: 0
    .symbol:         bluestein_single_fwd_len1875_dim1_dp_op_CI_CI.kd
    .uniform_work_group_size: 1
    .uses_dynamic_stack: false
    .vgpr_count:     256
    .vgpr_spill_count: 79
    .wavefront_size: 64
amdhsa.target:   amdgcn-amd-amdhsa--gfx906
amdhsa.version:
  - 1
  - 2
...

	.end_amdgpu_metadata
